;; amdgpu-corpus repo=ROCm/aiter kind=compiled arch=gfx1100 opt=O3
	.text
	.amdgcn_target "amdgcn-amd-amdhsa--gfx1100"
	.amdhsa_code_object_version 6
	.section	.text._ZN7ck_tileL11flush_cacheEv,"axG",@progbits,_ZN7ck_tileL11flush_cacheEv,comdat
	.globl	_ZN7ck_tileL11flush_cacheEv     ; -- Begin function _ZN7ck_tileL11flush_cacheEv
	.p2align	8
	.type	_ZN7ck_tileL11flush_cacheEv,@function
_ZN7ck_tileL11flush_cacheEv:            ; @_ZN7ck_tileL11flush_cacheEv
; %bb.0:
	;;#ASMSTART
	s_icache_inv 
	s_nop 0 
	s_nop 0 
	;; [unrolled: 1-line block ×16, first 2 shown]
	
	;;#ASMEND
	s_endpgm
	.section	.rodata,"a",@progbits
	.p2align	6, 0x0
	.amdhsa_kernel _ZN7ck_tileL11flush_cacheEv
		.amdhsa_group_segment_fixed_size 0
		.amdhsa_private_segment_fixed_size 0
		.amdhsa_kernarg_size 0
		.amdhsa_user_sgpr_count 15
		.amdhsa_user_sgpr_dispatch_ptr 0
		.amdhsa_user_sgpr_queue_ptr 0
		.amdhsa_user_sgpr_kernarg_segment_ptr 0
		.amdhsa_user_sgpr_dispatch_id 0
		.amdhsa_user_sgpr_private_segment_size 0
		.amdhsa_wavefront_size32 1
		.amdhsa_uses_dynamic_stack 0
		.amdhsa_enable_private_segment 0
		.amdhsa_system_sgpr_workgroup_id_x 1
		.amdhsa_system_sgpr_workgroup_id_y 0
		.amdhsa_system_sgpr_workgroup_id_z 0
		.amdhsa_system_sgpr_workgroup_info 0
		.amdhsa_system_vgpr_workitem_id 0
		.amdhsa_next_free_vgpr 1
		.amdhsa_next_free_sgpr 1
		.amdhsa_reserve_vcc 0
		.amdhsa_float_round_mode_32 0
		.amdhsa_float_round_mode_16_64 0
		.amdhsa_float_denorm_mode_32 3
		.amdhsa_float_denorm_mode_16_64 3
		.amdhsa_dx10_clamp 1
		.amdhsa_ieee_mode 1
		.amdhsa_fp16_overflow 0
		.amdhsa_workgroup_processor_mode 1
		.amdhsa_memory_ordered 1
		.amdhsa_forward_progress 0
		.amdhsa_shared_vgpr_count 0
		.amdhsa_exception_fp_ieee_invalid_op 0
		.amdhsa_exception_fp_denorm_src 0
		.amdhsa_exception_fp_ieee_div_zero 0
		.amdhsa_exception_fp_ieee_overflow 0
		.amdhsa_exception_fp_ieee_underflow 0
		.amdhsa_exception_fp_ieee_inexact 0
		.amdhsa_exception_int_div_zero 0
	.end_amdhsa_kernel
	.section	.text._ZN7ck_tileL11flush_cacheEv,"axG",@progbits,_ZN7ck_tileL11flush_cacheEv,comdat
.Lfunc_end0:
	.size	_ZN7ck_tileL11flush_cacheEv, .Lfunc_end0-_ZN7ck_tileL11flush_cacheEv
                                        ; -- End function
	.section	.AMDGPU.csdata,"",@progbits
; Kernel info:
; codeLenInByte = 344
; NumSgprs: 0
; NumVgprs: 0
; ScratchSize: 0
; MemoryBound: 0
; FloatMode: 240
; IeeeMode: 1
; LDSByteSize: 0 bytes/workgroup (compile time only)
; SGPRBlocks: 0
; VGPRBlocks: 0
; NumSGPRsForWavesPerEU: 1
; NumVGPRsForWavesPerEU: 1
; Occupancy: 16
; WaveLimiterHint : 0
; COMPUTE_PGM_RSRC2:SCRATCH_EN: 0
; COMPUTE_PGM_RSRC2:USER_SGPR: 15
; COMPUTE_PGM_RSRC2:TRAP_HANDLER: 0
; COMPUTE_PGM_RSRC2:TGID_X_EN: 1
; COMPUTE_PGM_RSRC2:TGID_Y_EN: 0
; COMPUTE_PGM_RSRC2:TGID_Z_EN: 0
; COMPUTE_PGM_RSRC2:TIDIG_COMP_CNT: 0
	.section	.text._Z21moe_fused_gate_kernelItLi32ELi256ELi8ELi1EEvPvS0_PfPilllldi,"axG",@progbits,_Z21moe_fused_gate_kernelItLi32ELi256ELi8ELi1EEvPvS0_PfPilllldi,comdat
	.protected	_Z21moe_fused_gate_kernelItLi32ELi256ELi8ELi1EEvPvS0_PfPilllldi ; -- Begin function _Z21moe_fused_gate_kernelItLi32ELi256ELi8ELi1EEvPvS0_PfPilllldi
	.globl	_Z21moe_fused_gate_kernelItLi32ELi256ELi8ELi1EEvPvS0_PfPilllldi
	.p2align	8
	.type	_Z21moe_fused_gate_kernelItLi32ELi256ELi8ELi1EEvPvS0_PfPilllldi,@function
_Z21moe_fused_gate_kernelItLi32ELi256ELi8ELi1EEvPvS0_PfPilllldi: ; @_Z21moe_fused_gate_kernelItLi32ELi256ELi8ELi1EEvPvS0_PfPilllldi
; %bb.0:
	s_load_b512 s[36:51], s[0:1], 0x0
	v_bfe_u32 v1, v0, 10, 10
	v_dual_mov_b32 v35, 0 :: v_dual_and_b32 v0, 0x3ff, v0
	s_mov_b32 s2, exec_lo
	s_delay_alu instid0(VALU_DEP_2) | instskip(NEXT) | instid1(VALU_DEP_2)
	v_add_nc_u32_e32 v1, s15, v1
	v_lshrrev_b32_e32 v42, 3, v0
	s_delay_alu instid0(VALU_DEP_3) | instskip(NEXT) | instid1(VALU_DEP_2)
	v_mov_b32_e32 v33, v35
	v_lshl_add_u32 v32, v1, 2, v42
	s_waitcnt lgkmcnt(0)
	s_delay_alu instid0(VALU_DEP_1)
	v_cmpx_gt_i64_e64 s[44:45], v[32:33]
	s_cbranch_execz .LBB1_217
; %bb.1:
	v_and_b32_e32 v34, 7, v0
	v_lshlrev_b64 v[0:1], 9, v[32:33]
	s_mov_b32 s2, exec_lo
	s_delay_alu instid0(VALU_DEP_2) | instskip(NEXT) | instid1(VALU_DEP_2)
	v_lshlrev_b32_e32 v12, 6, v34
	v_add_co_u32 v0, vcc_lo, s36, v0
	s_delay_alu instid0(VALU_DEP_3) | instskip(NEXT) | instid1(VALU_DEP_2)
	v_add_co_ci_u32_e32 v1, vcc_lo, s37, v1, vcc_lo
	v_add_co_u32 v0, vcc_lo, v0, v12
	s_delay_alu instid0(VALU_DEP_2)
	v_add_co_ci_u32_e32 v1, vcc_lo, 0, v1, vcc_lo
	s_clause 0x3
	global_load_b128 v[28:31], v[0:1], off
	global_load_b128 v[24:27], v[0:1], off offset:16
	global_load_b128 v[16:19], v[0:1], off offset:48
	;; [unrolled: 1-line block ×3, first 2 shown]
	s_clause 0x3
	global_load_b128 v[0:3], v12, s[38:39] offset:48
	global_load_b128 v[4:7], v12, s[38:39] offset:32
	;; [unrolled: 1-line block ×3, first 2 shown]
	global_load_b128 v[12:15], v12, s[38:39]
	s_waitcnt vmcnt(7)
	v_lshlrev_b32_e32 v36, 16, v28
	s_delay_alu instid0(VALU_DEP_1)
	v_cmpx_o_f32_e32 v36, v36
	s_cbranch_execz .LBB1_3
; %bb.2:
	v_mul_f32_e32 v35, 0xbfb8aa3b, v36
	v_cmp_nlt_f32_e32 vcc_lo, 0x42ce8ed0, v36
	s_delay_alu instid0(VALU_DEP_2) | instskip(SKIP_1) | instid1(VALU_DEP_1)
	v_rndne_f32_e32 v37, v35
	v_fma_f32 v38, 0xbfb8aa3b, v36, -v35
	v_dual_sub_f32 v35, v35, v37 :: v_dual_fmamk_f32 v38, v36, 0xb2a5705f, v38
	v_cvt_i32_f32_e32 v37, v37
	s_delay_alu instid0(VALU_DEP_2) | instskip(NEXT) | instid1(VALU_DEP_1)
	v_add_f32_e32 v35, v35, v38
	v_exp_f32_e32 v35, v35
	s_waitcnt_depctr 0xfff
	v_ldexp_f32 v35, v35, v37
	s_delay_alu instid0(VALU_DEP_1) | instskip(SKIP_1) | instid1(VALU_DEP_2)
	v_cndmask_b32_e32 v35, 0, v35, vcc_lo
	v_cmp_ngt_f32_e32 vcc_lo, 0xc2b17218, v36
	v_cndmask_b32_e32 v35, 0x7f800000, v35, vcc_lo
	s_delay_alu instid0(VALU_DEP_1) | instskip(NEXT) | instid1(VALU_DEP_1)
	v_add_f32_e32 v35, 1.0, v35
	v_div_scale_f32 v36, null, v35, v35, 1.0
	s_delay_alu instid0(VALU_DEP_1) | instskip(SKIP_2) | instid1(VALU_DEP_1)
	v_rcp_f32_e32 v37, v36
	s_waitcnt_depctr 0xfff
	v_fma_f32 v38, -v36, v37, 1.0
	v_fmac_f32_e32 v37, v38, v37
	v_div_scale_f32 v38, vcc_lo, 1.0, v35, 1.0
	s_delay_alu instid0(VALU_DEP_1) | instskip(NEXT) | instid1(VALU_DEP_1)
	v_mul_f32_e32 v39, v38, v37
	v_fma_f32 v40, -v36, v39, v38
	s_delay_alu instid0(VALU_DEP_1) | instskip(NEXT) | instid1(VALU_DEP_1)
	v_fmac_f32_e32 v39, v40, v37
	v_fma_f32 v36, -v36, v39, v38
	s_delay_alu instid0(VALU_DEP_1) | instskip(NEXT) | instid1(VALU_DEP_1)
	v_div_fmas_f32 v36, v36, v37, v39
	v_div_fixup_f32 v35, v36, v35, 1.0
.LBB1_3:
	s_or_b32 exec_lo, exec_lo, s2
	v_dual_mov_b32 v28, 0 :: v_dual_and_b32 v37, 0xffff0000, v28
	v_mov_b32_e32 v36, 0
	s_mov_b32 s2, exec_lo
	s_delay_alu instid0(VALU_DEP_2)
	v_cmpx_o_f32_e32 v37, v37
	s_cbranch_execz .LBB1_5
; %bb.4:
	v_mul_f32_e32 v36, 0xbfb8aa3b, v37
	v_cmp_nlt_f32_e32 vcc_lo, 0x42ce8ed0, v37
	s_delay_alu instid0(VALU_DEP_2) | instskip(SKIP_1) | instid1(VALU_DEP_1)
	v_rndne_f32_e32 v38, v36
	v_fma_f32 v39, 0xbfb8aa3b, v37, -v36
	v_dual_sub_f32 v36, v36, v38 :: v_dual_fmamk_f32 v39, v37, 0xb2a5705f, v39
	v_cvt_i32_f32_e32 v38, v38
	s_delay_alu instid0(VALU_DEP_2) | instskip(NEXT) | instid1(VALU_DEP_1)
	v_add_f32_e32 v36, v36, v39
	v_exp_f32_e32 v36, v36
	s_waitcnt_depctr 0xfff
	v_ldexp_f32 v36, v36, v38
	s_delay_alu instid0(VALU_DEP_1) | instskip(SKIP_1) | instid1(VALU_DEP_2)
	v_cndmask_b32_e32 v36, 0, v36, vcc_lo
	v_cmp_ngt_f32_e32 vcc_lo, 0xc2b17218, v37
	v_cndmask_b32_e32 v36, 0x7f800000, v36, vcc_lo
	s_delay_alu instid0(VALU_DEP_1) | instskip(NEXT) | instid1(VALU_DEP_1)
	v_add_f32_e32 v36, 1.0, v36
	v_div_scale_f32 v37, null, v36, v36, 1.0
	s_delay_alu instid0(VALU_DEP_1) | instskip(SKIP_2) | instid1(VALU_DEP_1)
	v_rcp_f32_e32 v38, v37
	s_waitcnt_depctr 0xfff
	v_fma_f32 v39, -v37, v38, 1.0
	v_fmac_f32_e32 v38, v39, v38
	v_div_scale_f32 v39, vcc_lo, 1.0, v36, 1.0
	s_delay_alu instid0(VALU_DEP_1) | instskip(NEXT) | instid1(VALU_DEP_1)
	v_mul_f32_e32 v40, v39, v38
	v_fma_f32 v41, -v37, v40, v39
	s_delay_alu instid0(VALU_DEP_1) | instskip(NEXT) | instid1(VALU_DEP_1)
	v_fmac_f32_e32 v40, v41, v38
	v_fma_f32 v37, -v37, v40, v39
	s_delay_alu instid0(VALU_DEP_1) | instskip(NEXT) | instid1(VALU_DEP_1)
	v_div_fmas_f32 v37, v37, v38, v40
	v_div_fixup_f32 v36, v37, v36, 1.0
.LBB1_5:
	s_or_b32 exec_lo, exec_lo, s2
	v_lshlrev_b32_e32 v37, 16, v29
	s_mov_b32 s2, exec_lo
	s_delay_alu instid0(VALU_DEP_1)
	v_cmpx_o_f32_e32 v37, v37
	s_cbranch_execz .LBB1_7
; %bb.6:
	v_mul_f32_e32 v28, 0xbfb8aa3b, v37
	v_cmp_nlt_f32_e32 vcc_lo, 0x42ce8ed0, v37
	s_delay_alu instid0(VALU_DEP_2) | instskip(SKIP_1) | instid1(VALU_DEP_1)
	v_rndne_f32_e32 v38, v28
	v_fma_f32 v39, 0xbfb8aa3b, v37, -v28
	v_dual_sub_f32 v28, v28, v38 :: v_dual_fmamk_f32 v39, v37, 0xb2a5705f, v39
	v_cvt_i32_f32_e32 v38, v38
	s_delay_alu instid0(VALU_DEP_2) | instskip(NEXT) | instid1(VALU_DEP_1)
	v_add_f32_e32 v28, v28, v39
	v_exp_f32_e32 v28, v28
	s_waitcnt_depctr 0xfff
	v_ldexp_f32 v28, v28, v38
	s_delay_alu instid0(VALU_DEP_1) | instskip(SKIP_1) | instid1(VALU_DEP_2)
	v_cndmask_b32_e32 v28, 0, v28, vcc_lo
	v_cmp_ngt_f32_e32 vcc_lo, 0xc2b17218, v37
	v_cndmask_b32_e32 v28, 0x7f800000, v28, vcc_lo
	s_delay_alu instid0(VALU_DEP_1) | instskip(NEXT) | instid1(VALU_DEP_1)
	v_add_f32_e32 v28, 1.0, v28
	v_div_scale_f32 v37, null, v28, v28, 1.0
	s_delay_alu instid0(VALU_DEP_1) | instskip(SKIP_2) | instid1(VALU_DEP_1)
	v_rcp_f32_e32 v38, v37
	s_waitcnt_depctr 0xfff
	v_fma_f32 v39, -v37, v38, 1.0
	v_fmac_f32_e32 v38, v39, v38
	v_div_scale_f32 v39, vcc_lo, 1.0, v28, 1.0
	s_delay_alu instid0(VALU_DEP_1) | instskip(NEXT) | instid1(VALU_DEP_1)
	v_mul_f32_e32 v40, v39, v38
	v_fma_f32 v41, -v37, v40, v39
	s_delay_alu instid0(VALU_DEP_1) | instskip(NEXT) | instid1(VALU_DEP_1)
	v_fmac_f32_e32 v40, v41, v38
	v_fma_f32 v37, -v37, v40, v39
	s_delay_alu instid0(VALU_DEP_1) | instskip(NEXT) | instid1(VALU_DEP_1)
	v_div_fmas_f32 v37, v37, v38, v40
	v_div_fixup_f32 v28, v37, v28, 1.0
.LBB1_7:
	s_or_b32 exec_lo, exec_lo, s2
	v_dual_mov_b32 v29, 0 :: v_dual_and_b32 v38, 0xffff0000, v29
	v_mov_b32_e32 v37, 0
	s_mov_b32 s2, exec_lo
	s_delay_alu instid0(VALU_DEP_2)
	v_cmpx_o_f32_e32 v38, v38
	s_cbranch_execz .LBB1_9
; %bb.8:
	v_mul_f32_e32 v37, 0xbfb8aa3b, v38
	v_cmp_nlt_f32_e32 vcc_lo, 0x42ce8ed0, v38
	s_delay_alu instid0(VALU_DEP_2) | instskip(SKIP_1) | instid1(VALU_DEP_1)
	v_rndne_f32_e32 v39, v37
	v_fma_f32 v40, 0xbfb8aa3b, v38, -v37
	v_dual_sub_f32 v37, v37, v39 :: v_dual_fmamk_f32 v40, v38, 0xb2a5705f, v40
	v_cvt_i32_f32_e32 v39, v39
	s_delay_alu instid0(VALU_DEP_2) | instskip(NEXT) | instid1(VALU_DEP_1)
	v_add_f32_e32 v37, v37, v40
	v_exp_f32_e32 v37, v37
	s_waitcnt_depctr 0xfff
	v_ldexp_f32 v37, v37, v39
	s_delay_alu instid0(VALU_DEP_1) | instskip(SKIP_1) | instid1(VALU_DEP_2)
	v_cndmask_b32_e32 v37, 0, v37, vcc_lo
	v_cmp_ngt_f32_e32 vcc_lo, 0xc2b17218, v38
	v_cndmask_b32_e32 v37, 0x7f800000, v37, vcc_lo
	s_delay_alu instid0(VALU_DEP_1) | instskip(NEXT) | instid1(VALU_DEP_1)
	v_add_f32_e32 v37, 1.0, v37
	v_div_scale_f32 v38, null, v37, v37, 1.0
	s_delay_alu instid0(VALU_DEP_1) | instskip(SKIP_2) | instid1(VALU_DEP_1)
	v_rcp_f32_e32 v39, v38
	s_waitcnt_depctr 0xfff
	v_fma_f32 v40, -v38, v39, 1.0
	v_fmac_f32_e32 v39, v40, v39
	v_div_scale_f32 v40, vcc_lo, 1.0, v37, 1.0
	s_delay_alu instid0(VALU_DEP_1) | instskip(NEXT) | instid1(VALU_DEP_1)
	v_mul_f32_e32 v41, v40, v39
	v_fma_f32 v43, -v38, v41, v40
	s_delay_alu instid0(VALU_DEP_1) | instskip(NEXT) | instid1(VALU_DEP_1)
	v_fmac_f32_e32 v41, v43, v39
	v_fma_f32 v38, -v38, v41, v40
	s_delay_alu instid0(VALU_DEP_1) | instskip(NEXT) | instid1(VALU_DEP_1)
	v_div_fmas_f32 v38, v38, v39, v41
	v_div_fixup_f32 v37, v38, v37, 1.0
.LBB1_9:
	s_or_b32 exec_lo, exec_lo, s2
	v_lshlrev_b32_e32 v38, 16, v30
	s_mov_b32 s2, exec_lo
	s_delay_alu instid0(VALU_DEP_1)
	v_cmpx_o_f32_e32 v38, v38
	s_cbranch_execz .LBB1_11
; %bb.10:
	v_mul_f32_e32 v29, 0xbfb8aa3b, v38
	v_cmp_nlt_f32_e32 vcc_lo, 0x42ce8ed0, v38
	s_delay_alu instid0(VALU_DEP_2) | instskip(SKIP_1) | instid1(VALU_DEP_1)
	v_rndne_f32_e32 v39, v29
	v_fma_f32 v40, 0xbfb8aa3b, v38, -v29
	v_dual_sub_f32 v29, v29, v39 :: v_dual_fmamk_f32 v40, v38, 0xb2a5705f, v40
	v_cvt_i32_f32_e32 v39, v39
	s_delay_alu instid0(VALU_DEP_2) | instskip(NEXT) | instid1(VALU_DEP_1)
	v_add_f32_e32 v29, v29, v40
	v_exp_f32_e32 v29, v29
	s_waitcnt_depctr 0xfff
	v_ldexp_f32 v29, v29, v39
	s_delay_alu instid0(VALU_DEP_1) | instskip(SKIP_1) | instid1(VALU_DEP_2)
	v_cndmask_b32_e32 v29, 0, v29, vcc_lo
	v_cmp_ngt_f32_e32 vcc_lo, 0xc2b17218, v38
	v_cndmask_b32_e32 v29, 0x7f800000, v29, vcc_lo
	s_delay_alu instid0(VALU_DEP_1) | instskip(NEXT) | instid1(VALU_DEP_1)
	v_add_f32_e32 v29, 1.0, v29
	v_div_scale_f32 v38, null, v29, v29, 1.0
	s_delay_alu instid0(VALU_DEP_1) | instskip(SKIP_2) | instid1(VALU_DEP_1)
	v_rcp_f32_e32 v39, v38
	s_waitcnt_depctr 0xfff
	v_fma_f32 v40, -v38, v39, 1.0
	v_fmac_f32_e32 v39, v40, v39
	v_div_scale_f32 v40, vcc_lo, 1.0, v29, 1.0
	s_delay_alu instid0(VALU_DEP_1) | instskip(NEXT) | instid1(VALU_DEP_1)
	v_mul_f32_e32 v41, v40, v39
	v_fma_f32 v43, -v38, v41, v40
	s_delay_alu instid0(VALU_DEP_1) | instskip(NEXT) | instid1(VALU_DEP_1)
	v_fmac_f32_e32 v41, v43, v39
	v_fma_f32 v38, -v38, v41, v40
	s_delay_alu instid0(VALU_DEP_1) | instskip(NEXT) | instid1(VALU_DEP_1)
	v_div_fmas_f32 v38, v38, v39, v41
	v_div_fixup_f32 v29, v38, v29, 1.0
.LBB1_11:
	s_or_b32 exec_lo, exec_lo, s2
	v_dual_mov_b32 v30, 0 :: v_dual_and_b32 v39, 0xffff0000, v30
	v_mov_b32_e32 v38, 0
	s_mov_b32 s2, exec_lo
	s_delay_alu instid0(VALU_DEP_2)
	v_cmpx_o_f32_e32 v39, v39
	s_cbranch_execz .LBB1_13
; %bb.12:
	v_mul_f32_e32 v38, 0xbfb8aa3b, v39
	v_cmp_nlt_f32_e32 vcc_lo, 0x42ce8ed0, v39
	s_delay_alu instid0(VALU_DEP_2) | instskip(SKIP_1) | instid1(VALU_DEP_1)
	v_rndne_f32_e32 v40, v38
	v_fma_f32 v41, 0xbfb8aa3b, v39, -v38
	v_dual_sub_f32 v38, v38, v40 :: v_dual_fmamk_f32 v41, v39, 0xb2a5705f, v41
	v_cvt_i32_f32_e32 v40, v40
	s_delay_alu instid0(VALU_DEP_2) | instskip(NEXT) | instid1(VALU_DEP_1)
	v_add_f32_e32 v38, v38, v41
	v_exp_f32_e32 v38, v38
	s_waitcnt_depctr 0xfff
	v_ldexp_f32 v38, v38, v40
	s_delay_alu instid0(VALU_DEP_1) | instskip(SKIP_1) | instid1(VALU_DEP_2)
	v_cndmask_b32_e32 v38, 0, v38, vcc_lo
	v_cmp_ngt_f32_e32 vcc_lo, 0xc2b17218, v39
	v_cndmask_b32_e32 v38, 0x7f800000, v38, vcc_lo
	s_delay_alu instid0(VALU_DEP_1) | instskip(NEXT) | instid1(VALU_DEP_1)
	v_add_f32_e32 v38, 1.0, v38
	v_div_scale_f32 v39, null, v38, v38, 1.0
	s_delay_alu instid0(VALU_DEP_1) | instskip(SKIP_2) | instid1(VALU_DEP_1)
	v_rcp_f32_e32 v40, v39
	s_waitcnt_depctr 0xfff
	v_fma_f32 v41, -v39, v40, 1.0
	v_fmac_f32_e32 v40, v41, v40
	v_div_scale_f32 v41, vcc_lo, 1.0, v38, 1.0
	s_delay_alu instid0(VALU_DEP_1) | instskip(NEXT) | instid1(VALU_DEP_1)
	v_mul_f32_e32 v43, v41, v40
	v_fma_f32 v44, -v39, v43, v41
	s_delay_alu instid0(VALU_DEP_1) | instskip(NEXT) | instid1(VALU_DEP_1)
	v_fmac_f32_e32 v43, v44, v40
	v_fma_f32 v39, -v39, v43, v41
	s_delay_alu instid0(VALU_DEP_1) | instskip(NEXT) | instid1(VALU_DEP_1)
	v_div_fmas_f32 v39, v39, v40, v43
	v_div_fixup_f32 v38, v39, v38, 1.0
.LBB1_13:
	s_or_b32 exec_lo, exec_lo, s2
	v_lshlrev_b32_e32 v39, 16, v31
	s_mov_b32 s2, exec_lo
	s_delay_alu instid0(VALU_DEP_1)
	v_cmpx_o_f32_e32 v39, v39
	s_cbranch_execz .LBB1_15
; %bb.14:
	v_mul_f32_e32 v30, 0xbfb8aa3b, v39
	v_cmp_nlt_f32_e32 vcc_lo, 0x42ce8ed0, v39
	s_delay_alu instid0(VALU_DEP_2) | instskip(SKIP_1) | instid1(VALU_DEP_1)
	v_rndne_f32_e32 v40, v30
	v_fma_f32 v41, 0xbfb8aa3b, v39, -v30
	v_dual_sub_f32 v30, v30, v40 :: v_dual_fmamk_f32 v41, v39, 0xb2a5705f, v41
	v_cvt_i32_f32_e32 v40, v40
	s_delay_alu instid0(VALU_DEP_2) | instskip(NEXT) | instid1(VALU_DEP_1)
	v_add_f32_e32 v30, v30, v41
	v_exp_f32_e32 v30, v30
	s_waitcnt_depctr 0xfff
	v_ldexp_f32 v30, v30, v40
	s_delay_alu instid0(VALU_DEP_1) | instskip(SKIP_1) | instid1(VALU_DEP_2)
	v_cndmask_b32_e32 v30, 0, v30, vcc_lo
	v_cmp_ngt_f32_e32 vcc_lo, 0xc2b17218, v39
	v_cndmask_b32_e32 v30, 0x7f800000, v30, vcc_lo
	s_delay_alu instid0(VALU_DEP_1) | instskip(NEXT) | instid1(VALU_DEP_1)
	v_add_f32_e32 v30, 1.0, v30
	v_div_scale_f32 v39, null, v30, v30, 1.0
	s_delay_alu instid0(VALU_DEP_1) | instskip(SKIP_2) | instid1(VALU_DEP_1)
	v_rcp_f32_e32 v40, v39
	s_waitcnt_depctr 0xfff
	v_fma_f32 v41, -v39, v40, 1.0
	v_fmac_f32_e32 v40, v41, v40
	v_div_scale_f32 v41, vcc_lo, 1.0, v30, 1.0
	s_delay_alu instid0(VALU_DEP_1) | instskip(NEXT) | instid1(VALU_DEP_1)
	v_mul_f32_e32 v43, v41, v40
	v_fma_f32 v44, -v39, v43, v41
	s_delay_alu instid0(VALU_DEP_1) | instskip(NEXT) | instid1(VALU_DEP_1)
	v_fmac_f32_e32 v43, v44, v40
	v_fma_f32 v39, -v39, v43, v41
	s_delay_alu instid0(VALU_DEP_1) | instskip(NEXT) | instid1(VALU_DEP_1)
	v_div_fmas_f32 v39, v39, v40, v43
	v_div_fixup_f32 v30, v39, v30, 1.0
.LBB1_15:
	s_or_b32 exec_lo, exec_lo, s2
	v_dual_mov_b32 v31, 0 :: v_dual_and_b32 v40, 0xffff0000, v31
	v_mov_b32_e32 v39, 0
	s_mov_b32 s2, exec_lo
	s_delay_alu instid0(VALU_DEP_2)
	v_cmpx_o_f32_e32 v40, v40
	s_cbranch_execz .LBB1_17
; %bb.16:
	v_mul_f32_e32 v39, 0xbfb8aa3b, v40
	v_cmp_nlt_f32_e32 vcc_lo, 0x42ce8ed0, v40
	s_delay_alu instid0(VALU_DEP_2) | instskip(SKIP_1) | instid1(VALU_DEP_2)
	v_rndne_f32_e32 v41, v39
	v_fma_f32 v43, 0xbfb8aa3b, v40, -v39
	v_sub_f32_e32 v39, v39, v41
	s_delay_alu instid0(VALU_DEP_2) | instskip(SKIP_1) | instid1(VALU_DEP_2)
	v_fmamk_f32 v43, v40, 0xb2a5705f, v43
	v_cvt_i32_f32_e32 v41, v41
	v_add_f32_e32 v39, v39, v43
	s_delay_alu instid0(VALU_DEP_1) | instskip(SKIP_2) | instid1(VALU_DEP_1)
	v_exp_f32_e32 v39, v39
	s_waitcnt_depctr 0xfff
	v_ldexp_f32 v39, v39, v41
	v_cndmask_b32_e32 v39, 0, v39, vcc_lo
	v_cmp_ngt_f32_e32 vcc_lo, 0xc2b17218, v40
	s_delay_alu instid0(VALU_DEP_2) | instskip(NEXT) | instid1(VALU_DEP_1)
	v_cndmask_b32_e32 v39, 0x7f800000, v39, vcc_lo
	v_add_f32_e32 v39, 1.0, v39
	s_delay_alu instid0(VALU_DEP_1) | instskip(NEXT) | instid1(VALU_DEP_1)
	v_div_scale_f32 v40, null, v39, v39, 1.0
	v_rcp_f32_e32 v41, v40
	s_waitcnt_depctr 0xfff
	v_fma_f32 v43, -v40, v41, 1.0
	s_delay_alu instid0(VALU_DEP_1) | instskip(SKIP_1) | instid1(VALU_DEP_1)
	v_fmac_f32_e32 v41, v43, v41
	v_div_scale_f32 v43, vcc_lo, 1.0, v39, 1.0
	v_mul_f32_e32 v44, v43, v41
	s_delay_alu instid0(VALU_DEP_1) | instskip(NEXT) | instid1(VALU_DEP_1)
	v_fma_f32 v45, -v40, v44, v43
	v_fmac_f32_e32 v44, v45, v41
	s_delay_alu instid0(VALU_DEP_1) | instskip(NEXT) | instid1(VALU_DEP_1)
	v_fma_f32 v40, -v40, v44, v43
	v_div_fmas_f32 v40, v40, v41, v44
	s_delay_alu instid0(VALU_DEP_1)
	v_div_fixup_f32 v39, v40, v39, 1.0
.LBB1_17:
	s_or_b32 exec_lo, exec_lo, s2
	s_waitcnt vmcnt(6)
	v_lshlrev_b32_e32 v40, 16, v24
	s_mov_b32 s2, exec_lo
	s_delay_alu instid0(VALU_DEP_1)
	v_cmpx_o_f32_e32 v40, v40
	s_cbranch_execz .LBB1_19
; %bb.18:
	v_mul_f32_e32 v31, 0xbfb8aa3b, v40
	v_cmp_nlt_f32_e32 vcc_lo, 0x42ce8ed0, v40
	s_delay_alu instid0(VALU_DEP_2) | instskip(SKIP_1) | instid1(VALU_DEP_2)
	v_rndne_f32_e32 v41, v31
	v_fma_f32 v43, 0xbfb8aa3b, v40, -v31
	v_sub_f32_e32 v31, v31, v41
	s_delay_alu instid0(VALU_DEP_2) | instskip(SKIP_1) | instid1(VALU_DEP_2)
	v_fmamk_f32 v43, v40, 0xb2a5705f, v43
	v_cvt_i32_f32_e32 v41, v41
	v_add_f32_e32 v31, v31, v43
	s_delay_alu instid0(VALU_DEP_1) | instskip(SKIP_2) | instid1(VALU_DEP_1)
	v_exp_f32_e32 v31, v31
	s_waitcnt_depctr 0xfff
	v_ldexp_f32 v31, v31, v41
	v_cndmask_b32_e32 v31, 0, v31, vcc_lo
	v_cmp_ngt_f32_e32 vcc_lo, 0xc2b17218, v40
	s_delay_alu instid0(VALU_DEP_2) | instskip(NEXT) | instid1(VALU_DEP_1)
	v_cndmask_b32_e32 v31, 0x7f800000, v31, vcc_lo
	v_add_f32_e32 v31, 1.0, v31
	s_delay_alu instid0(VALU_DEP_1) | instskip(NEXT) | instid1(VALU_DEP_1)
	v_div_scale_f32 v40, null, v31, v31, 1.0
	v_rcp_f32_e32 v41, v40
	s_waitcnt_depctr 0xfff
	v_fma_f32 v43, -v40, v41, 1.0
	s_delay_alu instid0(VALU_DEP_1) | instskip(SKIP_1) | instid1(VALU_DEP_1)
	v_fmac_f32_e32 v41, v43, v41
	v_div_scale_f32 v43, vcc_lo, 1.0, v31, 1.0
	v_mul_f32_e32 v44, v43, v41
	s_delay_alu instid0(VALU_DEP_1) | instskip(NEXT) | instid1(VALU_DEP_1)
	v_fma_f32 v45, -v40, v44, v43
	v_fmac_f32_e32 v44, v45, v41
	s_delay_alu instid0(VALU_DEP_1) | instskip(NEXT) | instid1(VALU_DEP_1)
	v_fma_f32 v40, -v40, v44, v43
	v_div_fmas_f32 v40, v40, v41, v44
	s_delay_alu instid0(VALU_DEP_1)
	v_div_fixup_f32 v31, v40, v31, 1.0
.LBB1_19:
	s_or_b32 exec_lo, exec_lo, s2
	v_dual_mov_b32 v24, 0 :: v_dual_and_b32 v41, 0xffff0000, v24
	v_mov_b32_e32 v40, 0
	s_mov_b32 s2, exec_lo
	s_delay_alu instid0(VALU_DEP_2)
	v_cmpx_o_f32_e32 v41, v41
	s_cbranch_execz .LBB1_21
; %bb.20:
	v_mul_f32_e32 v40, 0xbfb8aa3b, v41
	v_cmp_nlt_f32_e32 vcc_lo, 0x42ce8ed0, v41
	s_delay_alu instid0(VALU_DEP_2) | instskip(SKIP_1) | instid1(VALU_DEP_2)
	v_rndne_f32_e32 v43, v40
	v_fma_f32 v44, 0xbfb8aa3b, v41, -v40
	v_sub_f32_e32 v40, v40, v43
	s_delay_alu instid0(VALU_DEP_2) | instskip(SKIP_1) | instid1(VALU_DEP_2)
	v_fmamk_f32 v44, v41, 0xb2a5705f, v44
	v_cvt_i32_f32_e32 v43, v43
	v_add_f32_e32 v40, v40, v44
	s_delay_alu instid0(VALU_DEP_1) | instskip(SKIP_2) | instid1(VALU_DEP_1)
	v_exp_f32_e32 v40, v40
	s_waitcnt_depctr 0xfff
	v_ldexp_f32 v40, v40, v43
	v_cndmask_b32_e32 v40, 0, v40, vcc_lo
	v_cmp_ngt_f32_e32 vcc_lo, 0xc2b17218, v41
	s_delay_alu instid0(VALU_DEP_2) | instskip(NEXT) | instid1(VALU_DEP_1)
	v_cndmask_b32_e32 v40, 0x7f800000, v40, vcc_lo
	v_add_f32_e32 v40, 1.0, v40
	s_delay_alu instid0(VALU_DEP_1) | instskip(NEXT) | instid1(VALU_DEP_1)
	v_div_scale_f32 v41, null, v40, v40, 1.0
	v_rcp_f32_e32 v43, v41
	s_waitcnt_depctr 0xfff
	v_fma_f32 v44, -v41, v43, 1.0
	s_delay_alu instid0(VALU_DEP_1) | instskip(SKIP_1) | instid1(VALU_DEP_1)
	v_fmac_f32_e32 v43, v44, v43
	v_div_scale_f32 v44, vcc_lo, 1.0, v40, 1.0
	v_mul_f32_e32 v45, v44, v43
	s_delay_alu instid0(VALU_DEP_1) | instskip(NEXT) | instid1(VALU_DEP_1)
	v_fma_f32 v46, -v41, v45, v44
	v_fmac_f32_e32 v45, v46, v43
	s_delay_alu instid0(VALU_DEP_1) | instskip(NEXT) | instid1(VALU_DEP_1)
	v_fma_f32 v41, -v41, v45, v44
	v_div_fmas_f32 v41, v41, v43, v45
	s_delay_alu instid0(VALU_DEP_1)
	v_div_fixup_f32 v40, v41, v40, 1.0
.LBB1_21:
	s_or_b32 exec_lo, exec_lo, s2
	v_lshlrev_b32_e32 v41, 16, v25
	s_mov_b32 s2, exec_lo
	s_delay_alu instid0(VALU_DEP_1)
	v_cmpx_o_f32_e32 v41, v41
	s_cbranch_execz .LBB1_23
; %bb.22:
	v_mul_f32_e32 v24, 0xbfb8aa3b, v41
	v_cmp_nlt_f32_e32 vcc_lo, 0x42ce8ed0, v41
	s_delay_alu instid0(VALU_DEP_2) | instskip(SKIP_1) | instid1(VALU_DEP_2)
	v_rndne_f32_e32 v43, v24
	v_fma_f32 v44, 0xbfb8aa3b, v41, -v24
	v_sub_f32_e32 v24, v24, v43
	s_delay_alu instid0(VALU_DEP_2) | instskip(SKIP_1) | instid1(VALU_DEP_2)
	v_fmamk_f32 v44, v41, 0xb2a5705f, v44
	v_cvt_i32_f32_e32 v43, v43
	v_add_f32_e32 v24, v24, v44
	s_delay_alu instid0(VALU_DEP_1) | instskip(SKIP_2) | instid1(VALU_DEP_1)
	v_exp_f32_e32 v24, v24
	s_waitcnt_depctr 0xfff
	v_ldexp_f32 v24, v24, v43
	v_cndmask_b32_e32 v24, 0, v24, vcc_lo
	v_cmp_ngt_f32_e32 vcc_lo, 0xc2b17218, v41
	s_delay_alu instid0(VALU_DEP_2) | instskip(NEXT) | instid1(VALU_DEP_1)
	v_cndmask_b32_e32 v24, 0x7f800000, v24, vcc_lo
	v_add_f32_e32 v24, 1.0, v24
	s_delay_alu instid0(VALU_DEP_1) | instskip(NEXT) | instid1(VALU_DEP_1)
	v_div_scale_f32 v41, null, v24, v24, 1.0
	v_rcp_f32_e32 v43, v41
	s_waitcnt_depctr 0xfff
	v_fma_f32 v44, -v41, v43, 1.0
	s_delay_alu instid0(VALU_DEP_1) | instskip(SKIP_1) | instid1(VALU_DEP_1)
	v_fmac_f32_e32 v43, v44, v43
	v_div_scale_f32 v44, vcc_lo, 1.0, v24, 1.0
	v_mul_f32_e32 v45, v44, v43
	s_delay_alu instid0(VALU_DEP_1) | instskip(NEXT) | instid1(VALU_DEP_1)
	v_fma_f32 v46, -v41, v45, v44
	v_fmac_f32_e32 v45, v46, v43
	s_delay_alu instid0(VALU_DEP_1) | instskip(NEXT) | instid1(VALU_DEP_1)
	v_fma_f32 v41, -v41, v45, v44
	v_div_fmas_f32 v41, v41, v43, v45
	s_delay_alu instid0(VALU_DEP_1)
	v_div_fixup_f32 v24, v41, v24, 1.0
.LBB1_23:
	s_or_b32 exec_lo, exec_lo, s2
	v_and_b32_e32 v43, 0xffff0000, v25
	v_mov_b32_e32 v25, 0
	v_mov_b32_e32 v41, 0
	s_mov_b32 s2, exec_lo
	s_delay_alu instid0(VALU_DEP_3)
	v_cmpx_o_f32_e32 v43, v43
	s_cbranch_execz .LBB1_25
; %bb.24:
	v_mul_f32_e32 v41, 0xbfb8aa3b, v43
	v_cmp_nlt_f32_e32 vcc_lo, 0x42ce8ed0, v43
	s_delay_alu instid0(VALU_DEP_2) | instskip(SKIP_1) | instid1(VALU_DEP_2)
	v_rndne_f32_e32 v44, v41
	v_fma_f32 v45, 0xbfb8aa3b, v43, -v41
	v_sub_f32_e32 v41, v41, v44
	s_delay_alu instid0(VALU_DEP_2) | instskip(SKIP_1) | instid1(VALU_DEP_2)
	v_fmamk_f32 v45, v43, 0xb2a5705f, v45
	v_cvt_i32_f32_e32 v44, v44
	v_add_f32_e32 v41, v41, v45
	s_delay_alu instid0(VALU_DEP_1) | instskip(SKIP_2) | instid1(VALU_DEP_1)
	v_exp_f32_e32 v41, v41
	s_waitcnt_depctr 0xfff
	v_ldexp_f32 v41, v41, v44
	v_cndmask_b32_e32 v41, 0, v41, vcc_lo
	v_cmp_ngt_f32_e32 vcc_lo, 0xc2b17218, v43
	s_delay_alu instid0(VALU_DEP_2) | instskip(NEXT) | instid1(VALU_DEP_1)
	v_cndmask_b32_e32 v41, 0x7f800000, v41, vcc_lo
	v_add_f32_e32 v41, 1.0, v41
	s_delay_alu instid0(VALU_DEP_1) | instskip(NEXT) | instid1(VALU_DEP_1)
	v_div_scale_f32 v43, null, v41, v41, 1.0
	v_rcp_f32_e32 v44, v43
	s_waitcnt_depctr 0xfff
	v_fma_f32 v45, -v43, v44, 1.0
	s_delay_alu instid0(VALU_DEP_1) | instskip(SKIP_1) | instid1(VALU_DEP_1)
	v_fmac_f32_e32 v44, v45, v44
	v_div_scale_f32 v45, vcc_lo, 1.0, v41, 1.0
	v_mul_f32_e32 v46, v45, v44
	s_delay_alu instid0(VALU_DEP_1) | instskip(NEXT) | instid1(VALU_DEP_1)
	v_fma_f32 v47, -v43, v46, v45
	v_fmac_f32_e32 v46, v47, v44
	s_delay_alu instid0(VALU_DEP_1) | instskip(NEXT) | instid1(VALU_DEP_1)
	v_fma_f32 v43, -v43, v46, v45
	v_div_fmas_f32 v43, v43, v44, v46
	s_delay_alu instid0(VALU_DEP_1)
	v_div_fixup_f32 v41, v43, v41, 1.0
.LBB1_25:
	s_or_b32 exec_lo, exec_lo, s2
	v_lshlrev_b32_e32 v43, 16, v26
	s_mov_b32 s2, exec_lo
	s_delay_alu instid0(VALU_DEP_1)
	v_cmpx_o_f32_e32 v43, v43
	s_cbranch_execz .LBB1_27
; %bb.26:
	v_mul_f32_e32 v25, 0xbfb8aa3b, v43
	v_cmp_nlt_f32_e32 vcc_lo, 0x42ce8ed0, v43
	s_delay_alu instid0(VALU_DEP_2) | instskip(SKIP_1) | instid1(VALU_DEP_2)
	v_rndne_f32_e32 v44, v25
	v_fma_f32 v45, 0xbfb8aa3b, v43, -v25
	v_sub_f32_e32 v25, v25, v44
	s_delay_alu instid0(VALU_DEP_2) | instskip(SKIP_1) | instid1(VALU_DEP_2)
	v_fmamk_f32 v45, v43, 0xb2a5705f, v45
	v_cvt_i32_f32_e32 v44, v44
	v_add_f32_e32 v25, v25, v45
	s_delay_alu instid0(VALU_DEP_1) | instskip(SKIP_2) | instid1(VALU_DEP_1)
	v_exp_f32_e32 v25, v25
	s_waitcnt_depctr 0xfff
	v_ldexp_f32 v25, v25, v44
	v_cndmask_b32_e32 v25, 0, v25, vcc_lo
	v_cmp_ngt_f32_e32 vcc_lo, 0xc2b17218, v43
	s_delay_alu instid0(VALU_DEP_2) | instskip(NEXT) | instid1(VALU_DEP_1)
	v_cndmask_b32_e32 v25, 0x7f800000, v25, vcc_lo
	v_add_f32_e32 v25, 1.0, v25
	s_delay_alu instid0(VALU_DEP_1) | instskip(NEXT) | instid1(VALU_DEP_1)
	v_div_scale_f32 v43, null, v25, v25, 1.0
	v_rcp_f32_e32 v44, v43
	s_waitcnt_depctr 0xfff
	v_fma_f32 v45, -v43, v44, 1.0
	s_delay_alu instid0(VALU_DEP_1) | instskip(SKIP_1) | instid1(VALU_DEP_1)
	v_fmac_f32_e32 v44, v45, v44
	v_div_scale_f32 v45, vcc_lo, 1.0, v25, 1.0
	v_mul_f32_e32 v46, v45, v44
	s_delay_alu instid0(VALU_DEP_1) | instskip(NEXT) | instid1(VALU_DEP_1)
	v_fma_f32 v47, -v43, v46, v45
	v_fmac_f32_e32 v46, v47, v44
	s_delay_alu instid0(VALU_DEP_1) | instskip(NEXT) | instid1(VALU_DEP_1)
	v_fma_f32 v43, -v43, v46, v45
	v_div_fmas_f32 v43, v43, v44, v46
	s_delay_alu instid0(VALU_DEP_1)
	v_div_fixup_f32 v25, v43, v25, 1.0
.LBB1_27:
	s_or_b32 exec_lo, exec_lo, s2
	v_dual_mov_b32 v43, 0 :: v_dual_and_b32 v44, 0xffff0000, v26
	v_mov_b32_e32 v26, 0
	s_mov_b32 s2, exec_lo
	s_delay_alu instid0(VALU_DEP_2)
	v_cmpx_o_f32_e32 v44, v44
	s_cbranch_execz .LBB1_29
; %bb.28:
	v_mul_f32_e32 v43, 0xbfb8aa3b, v44
	v_cmp_nlt_f32_e32 vcc_lo, 0x42ce8ed0, v44
	s_delay_alu instid0(VALU_DEP_2) | instskip(SKIP_1) | instid1(VALU_DEP_1)
	v_rndne_f32_e32 v45, v43
	v_fma_f32 v46, 0xbfb8aa3b, v44, -v43
	v_dual_sub_f32 v43, v43, v45 :: v_dual_fmamk_f32 v46, v44, 0xb2a5705f, v46
	v_cvt_i32_f32_e32 v45, v45
	s_delay_alu instid0(VALU_DEP_2) | instskip(NEXT) | instid1(VALU_DEP_1)
	v_add_f32_e32 v43, v43, v46
	v_exp_f32_e32 v43, v43
	s_waitcnt_depctr 0xfff
	v_ldexp_f32 v43, v43, v45
	s_delay_alu instid0(VALU_DEP_1) | instskip(SKIP_1) | instid1(VALU_DEP_2)
	v_cndmask_b32_e32 v43, 0, v43, vcc_lo
	v_cmp_ngt_f32_e32 vcc_lo, 0xc2b17218, v44
	v_cndmask_b32_e32 v43, 0x7f800000, v43, vcc_lo
	s_delay_alu instid0(VALU_DEP_1) | instskip(NEXT) | instid1(VALU_DEP_1)
	v_add_f32_e32 v43, 1.0, v43
	v_div_scale_f32 v44, null, v43, v43, 1.0
	s_delay_alu instid0(VALU_DEP_1) | instskip(SKIP_2) | instid1(VALU_DEP_1)
	v_rcp_f32_e32 v45, v44
	s_waitcnt_depctr 0xfff
	v_fma_f32 v46, -v44, v45, 1.0
	v_fmac_f32_e32 v45, v46, v45
	v_div_scale_f32 v46, vcc_lo, 1.0, v43, 1.0
	s_delay_alu instid0(VALU_DEP_1) | instskip(NEXT) | instid1(VALU_DEP_1)
	v_mul_f32_e32 v47, v46, v45
	v_fma_f32 v48, -v44, v47, v46
	s_delay_alu instid0(VALU_DEP_1) | instskip(NEXT) | instid1(VALU_DEP_1)
	v_fmac_f32_e32 v47, v48, v45
	v_fma_f32 v44, -v44, v47, v46
	s_delay_alu instid0(VALU_DEP_1) | instskip(NEXT) | instid1(VALU_DEP_1)
	v_div_fmas_f32 v44, v44, v45, v47
	v_div_fixup_f32 v43, v44, v43, 1.0
.LBB1_29:
	s_or_b32 exec_lo, exec_lo, s2
	v_lshlrev_b32_e32 v44, 16, v27
	s_mov_b32 s2, exec_lo
	s_delay_alu instid0(VALU_DEP_1)
	v_cmpx_o_f32_e32 v44, v44
	s_cbranch_execz .LBB1_31
; %bb.30:
	v_mul_f32_e32 v26, 0xbfb8aa3b, v44
	v_cmp_nlt_f32_e32 vcc_lo, 0x42ce8ed0, v44
	s_delay_alu instid0(VALU_DEP_2) | instskip(SKIP_1) | instid1(VALU_DEP_2)
	v_rndne_f32_e32 v45, v26
	v_fma_f32 v46, 0xbfb8aa3b, v44, -v26
	v_sub_f32_e32 v26, v26, v45
	s_delay_alu instid0(VALU_DEP_2) | instskip(SKIP_1) | instid1(VALU_DEP_2)
	v_fmamk_f32 v46, v44, 0xb2a5705f, v46
	v_cvt_i32_f32_e32 v45, v45
	v_add_f32_e32 v26, v26, v46
	s_delay_alu instid0(VALU_DEP_1) | instskip(SKIP_2) | instid1(VALU_DEP_1)
	v_exp_f32_e32 v26, v26
	s_waitcnt_depctr 0xfff
	v_ldexp_f32 v26, v26, v45
	v_cndmask_b32_e32 v26, 0, v26, vcc_lo
	v_cmp_ngt_f32_e32 vcc_lo, 0xc2b17218, v44
	s_delay_alu instid0(VALU_DEP_2) | instskip(NEXT) | instid1(VALU_DEP_1)
	v_cndmask_b32_e32 v26, 0x7f800000, v26, vcc_lo
	v_add_f32_e32 v26, 1.0, v26
	s_delay_alu instid0(VALU_DEP_1) | instskip(NEXT) | instid1(VALU_DEP_1)
	v_div_scale_f32 v44, null, v26, v26, 1.0
	v_rcp_f32_e32 v45, v44
	s_waitcnt_depctr 0xfff
	v_fma_f32 v46, -v44, v45, 1.0
	s_delay_alu instid0(VALU_DEP_1) | instskip(SKIP_1) | instid1(VALU_DEP_1)
	v_fmac_f32_e32 v45, v46, v45
	v_div_scale_f32 v46, vcc_lo, 1.0, v26, 1.0
	v_mul_f32_e32 v47, v46, v45
	s_delay_alu instid0(VALU_DEP_1) | instskip(NEXT) | instid1(VALU_DEP_1)
	v_fma_f32 v48, -v44, v47, v46
	v_fmac_f32_e32 v47, v48, v45
	s_delay_alu instid0(VALU_DEP_1) | instskip(NEXT) | instid1(VALU_DEP_1)
	v_fma_f32 v44, -v44, v47, v46
	v_div_fmas_f32 v44, v44, v45, v47
	s_delay_alu instid0(VALU_DEP_1)
	v_div_fixup_f32 v26, v44, v26, 1.0
.LBB1_31:
	s_or_b32 exec_lo, exec_lo, s2
	v_dual_mov_b32 v44, 0 :: v_dual_and_b32 v45, 0xffff0000, v27
	v_mov_b32_e32 v27, 0
	s_mov_b32 s2, exec_lo
	s_delay_alu instid0(VALU_DEP_2)
	v_cmpx_o_f32_e32 v45, v45
	s_cbranch_execz .LBB1_33
; %bb.32:
	v_mul_f32_e32 v44, 0xbfb8aa3b, v45
	v_cmp_nlt_f32_e32 vcc_lo, 0x42ce8ed0, v45
	s_delay_alu instid0(VALU_DEP_2) | instskip(SKIP_1) | instid1(VALU_DEP_1)
	v_rndne_f32_e32 v46, v44
	v_fma_f32 v47, 0xbfb8aa3b, v45, -v44
	v_dual_sub_f32 v44, v44, v46 :: v_dual_fmamk_f32 v47, v45, 0xb2a5705f, v47
	v_cvt_i32_f32_e32 v46, v46
	s_delay_alu instid0(VALU_DEP_2) | instskip(NEXT) | instid1(VALU_DEP_1)
	v_add_f32_e32 v44, v44, v47
	v_exp_f32_e32 v44, v44
	s_waitcnt_depctr 0xfff
	v_ldexp_f32 v44, v44, v46
	s_delay_alu instid0(VALU_DEP_1) | instskip(SKIP_1) | instid1(VALU_DEP_2)
	v_cndmask_b32_e32 v44, 0, v44, vcc_lo
	v_cmp_ngt_f32_e32 vcc_lo, 0xc2b17218, v45
	v_cndmask_b32_e32 v44, 0x7f800000, v44, vcc_lo
	s_delay_alu instid0(VALU_DEP_1) | instskip(NEXT) | instid1(VALU_DEP_1)
	v_add_f32_e32 v44, 1.0, v44
	v_div_scale_f32 v45, null, v44, v44, 1.0
	s_delay_alu instid0(VALU_DEP_1) | instskip(SKIP_2) | instid1(VALU_DEP_1)
	v_rcp_f32_e32 v46, v45
	s_waitcnt_depctr 0xfff
	v_fma_f32 v47, -v45, v46, 1.0
	v_fmac_f32_e32 v46, v47, v46
	v_div_scale_f32 v47, vcc_lo, 1.0, v44, 1.0
	s_delay_alu instid0(VALU_DEP_1) | instskip(NEXT) | instid1(VALU_DEP_1)
	v_mul_f32_e32 v48, v47, v46
	v_fma_f32 v49, -v45, v48, v47
	s_delay_alu instid0(VALU_DEP_1) | instskip(NEXT) | instid1(VALU_DEP_1)
	v_fmac_f32_e32 v48, v49, v46
	v_fma_f32 v45, -v45, v48, v47
	s_delay_alu instid0(VALU_DEP_1) | instskip(NEXT) | instid1(VALU_DEP_1)
	v_div_fmas_f32 v45, v45, v46, v48
	v_div_fixup_f32 v44, v45, v44, 1.0
.LBB1_33:
	s_or_b32 exec_lo, exec_lo, s2
	s_waitcnt vmcnt(4)
	v_lshlrev_b32_e32 v45, 16, v20
	s_mov_b32 s2, exec_lo
	s_delay_alu instid0(VALU_DEP_1)
	v_cmpx_o_f32_e32 v45, v45
	s_cbranch_execz .LBB1_35
; %bb.34:
	v_mul_f32_e32 v27, 0xbfb8aa3b, v45
	v_cmp_nlt_f32_e32 vcc_lo, 0x42ce8ed0, v45
	s_delay_alu instid0(VALU_DEP_2) | instskip(SKIP_1) | instid1(VALU_DEP_2)
	v_rndne_f32_e32 v46, v27
	v_fma_f32 v47, 0xbfb8aa3b, v45, -v27
	v_sub_f32_e32 v27, v27, v46
	s_delay_alu instid0(VALU_DEP_2) | instskip(SKIP_1) | instid1(VALU_DEP_2)
	v_fmamk_f32 v47, v45, 0xb2a5705f, v47
	v_cvt_i32_f32_e32 v46, v46
	v_add_f32_e32 v27, v27, v47
	s_delay_alu instid0(VALU_DEP_1) | instskip(SKIP_2) | instid1(VALU_DEP_1)
	v_exp_f32_e32 v27, v27
	s_waitcnt_depctr 0xfff
	v_ldexp_f32 v27, v27, v46
	v_cndmask_b32_e32 v27, 0, v27, vcc_lo
	v_cmp_ngt_f32_e32 vcc_lo, 0xc2b17218, v45
	s_delay_alu instid0(VALU_DEP_2) | instskip(NEXT) | instid1(VALU_DEP_1)
	v_cndmask_b32_e32 v27, 0x7f800000, v27, vcc_lo
	v_add_f32_e32 v27, 1.0, v27
	s_delay_alu instid0(VALU_DEP_1) | instskip(NEXT) | instid1(VALU_DEP_1)
	v_div_scale_f32 v45, null, v27, v27, 1.0
	v_rcp_f32_e32 v46, v45
	s_waitcnt_depctr 0xfff
	v_fma_f32 v47, -v45, v46, 1.0
	s_delay_alu instid0(VALU_DEP_1) | instskip(SKIP_1) | instid1(VALU_DEP_1)
	v_fmac_f32_e32 v46, v47, v46
	v_div_scale_f32 v47, vcc_lo, 1.0, v27, 1.0
	v_mul_f32_e32 v48, v47, v46
	s_delay_alu instid0(VALU_DEP_1) | instskip(NEXT) | instid1(VALU_DEP_1)
	v_fma_f32 v49, -v45, v48, v47
	v_fmac_f32_e32 v48, v49, v46
	s_delay_alu instid0(VALU_DEP_1) | instskip(NEXT) | instid1(VALU_DEP_1)
	v_fma_f32 v45, -v45, v48, v47
	v_div_fmas_f32 v45, v45, v46, v48
	s_delay_alu instid0(VALU_DEP_1)
	v_div_fixup_f32 v27, v45, v27, 1.0
.LBB1_35:
	s_or_b32 exec_lo, exec_lo, s2
	v_dual_mov_b32 v45, 0 :: v_dual_and_b32 v46, 0xffff0000, v20
	v_mov_b32_e32 v20, 0
	s_mov_b32 s2, exec_lo
	s_delay_alu instid0(VALU_DEP_2)
	v_cmpx_o_f32_e32 v46, v46
	s_cbranch_execz .LBB1_37
; %bb.36:
	v_mul_f32_e32 v45, 0xbfb8aa3b, v46
	v_cmp_nlt_f32_e32 vcc_lo, 0x42ce8ed0, v46
	s_delay_alu instid0(VALU_DEP_2) | instskip(SKIP_1) | instid1(VALU_DEP_1)
	v_rndne_f32_e32 v47, v45
	v_fma_f32 v48, 0xbfb8aa3b, v46, -v45
	v_dual_sub_f32 v45, v45, v47 :: v_dual_fmamk_f32 v48, v46, 0xb2a5705f, v48
	v_cvt_i32_f32_e32 v47, v47
	s_delay_alu instid0(VALU_DEP_2) | instskip(NEXT) | instid1(VALU_DEP_1)
	v_add_f32_e32 v45, v45, v48
	v_exp_f32_e32 v45, v45
	s_waitcnt_depctr 0xfff
	v_ldexp_f32 v45, v45, v47
	s_delay_alu instid0(VALU_DEP_1) | instskip(SKIP_1) | instid1(VALU_DEP_2)
	v_cndmask_b32_e32 v45, 0, v45, vcc_lo
	v_cmp_ngt_f32_e32 vcc_lo, 0xc2b17218, v46
	v_cndmask_b32_e32 v45, 0x7f800000, v45, vcc_lo
	s_delay_alu instid0(VALU_DEP_1) | instskip(NEXT) | instid1(VALU_DEP_1)
	v_add_f32_e32 v45, 1.0, v45
	v_div_scale_f32 v46, null, v45, v45, 1.0
	s_delay_alu instid0(VALU_DEP_1) | instskip(SKIP_2) | instid1(VALU_DEP_1)
	v_rcp_f32_e32 v47, v46
	s_waitcnt_depctr 0xfff
	v_fma_f32 v48, -v46, v47, 1.0
	v_fmac_f32_e32 v47, v48, v47
	v_div_scale_f32 v48, vcc_lo, 1.0, v45, 1.0
	s_delay_alu instid0(VALU_DEP_1) | instskip(NEXT) | instid1(VALU_DEP_1)
	v_mul_f32_e32 v49, v48, v47
	v_fma_f32 v50, -v46, v49, v48
	s_delay_alu instid0(VALU_DEP_1) | instskip(NEXT) | instid1(VALU_DEP_1)
	v_fmac_f32_e32 v49, v50, v47
	v_fma_f32 v46, -v46, v49, v48
	s_delay_alu instid0(VALU_DEP_1) | instskip(NEXT) | instid1(VALU_DEP_1)
	v_div_fmas_f32 v46, v46, v47, v49
	v_div_fixup_f32 v45, v46, v45, 1.0
.LBB1_37:
	s_or_b32 exec_lo, exec_lo, s2
	v_lshlrev_b32_e32 v46, 16, v21
	s_mov_b32 s2, exec_lo
	s_delay_alu instid0(VALU_DEP_1)
	v_cmpx_o_f32_e32 v46, v46
	s_cbranch_execz .LBB1_39
; %bb.38:
	v_mul_f32_e32 v20, 0xbfb8aa3b, v46
	v_cmp_nlt_f32_e32 vcc_lo, 0x42ce8ed0, v46
	s_delay_alu instid0(VALU_DEP_2) | instskip(SKIP_1) | instid1(VALU_DEP_2)
	v_rndne_f32_e32 v47, v20
	v_fma_f32 v48, 0xbfb8aa3b, v46, -v20
	v_sub_f32_e32 v20, v20, v47
	s_delay_alu instid0(VALU_DEP_2) | instskip(SKIP_1) | instid1(VALU_DEP_2)
	v_fmamk_f32 v48, v46, 0xb2a5705f, v48
	v_cvt_i32_f32_e32 v47, v47
	v_add_f32_e32 v20, v20, v48
	s_delay_alu instid0(VALU_DEP_1) | instskip(SKIP_2) | instid1(VALU_DEP_1)
	v_exp_f32_e32 v20, v20
	s_waitcnt_depctr 0xfff
	v_ldexp_f32 v20, v20, v47
	v_cndmask_b32_e32 v20, 0, v20, vcc_lo
	v_cmp_ngt_f32_e32 vcc_lo, 0xc2b17218, v46
	s_delay_alu instid0(VALU_DEP_2) | instskip(NEXT) | instid1(VALU_DEP_1)
	v_cndmask_b32_e32 v20, 0x7f800000, v20, vcc_lo
	v_add_f32_e32 v20, 1.0, v20
	s_delay_alu instid0(VALU_DEP_1) | instskip(NEXT) | instid1(VALU_DEP_1)
	v_div_scale_f32 v46, null, v20, v20, 1.0
	v_rcp_f32_e32 v47, v46
	s_waitcnt_depctr 0xfff
	v_fma_f32 v48, -v46, v47, 1.0
	s_delay_alu instid0(VALU_DEP_1) | instskip(SKIP_1) | instid1(VALU_DEP_1)
	v_fmac_f32_e32 v47, v48, v47
	v_div_scale_f32 v48, vcc_lo, 1.0, v20, 1.0
	v_mul_f32_e32 v49, v48, v47
	s_delay_alu instid0(VALU_DEP_1) | instskip(NEXT) | instid1(VALU_DEP_1)
	v_fma_f32 v50, -v46, v49, v48
	v_fmac_f32_e32 v49, v50, v47
	s_delay_alu instid0(VALU_DEP_1) | instskip(NEXT) | instid1(VALU_DEP_1)
	v_fma_f32 v46, -v46, v49, v48
	v_div_fmas_f32 v46, v46, v47, v49
	s_delay_alu instid0(VALU_DEP_1)
	v_div_fixup_f32 v20, v46, v20, 1.0
.LBB1_39:
	s_or_b32 exec_lo, exec_lo, s2
	v_dual_mov_b32 v46, 0 :: v_dual_and_b32 v47, 0xffff0000, v21
	v_mov_b32_e32 v21, 0
	s_mov_b32 s2, exec_lo
	s_delay_alu instid0(VALU_DEP_2)
	v_cmpx_o_f32_e32 v47, v47
	s_cbranch_execz .LBB1_41
; %bb.40:
	v_mul_f32_e32 v46, 0xbfb8aa3b, v47
	v_cmp_nlt_f32_e32 vcc_lo, 0x42ce8ed0, v47
	s_delay_alu instid0(VALU_DEP_2) | instskip(SKIP_1) | instid1(VALU_DEP_1)
	v_rndne_f32_e32 v48, v46
	v_fma_f32 v49, 0xbfb8aa3b, v47, -v46
	v_dual_sub_f32 v46, v46, v48 :: v_dual_fmamk_f32 v49, v47, 0xb2a5705f, v49
	v_cvt_i32_f32_e32 v48, v48
	s_delay_alu instid0(VALU_DEP_2) | instskip(NEXT) | instid1(VALU_DEP_1)
	v_add_f32_e32 v46, v46, v49
	v_exp_f32_e32 v46, v46
	s_waitcnt_depctr 0xfff
	v_ldexp_f32 v46, v46, v48
	s_delay_alu instid0(VALU_DEP_1) | instskip(SKIP_1) | instid1(VALU_DEP_2)
	v_cndmask_b32_e32 v46, 0, v46, vcc_lo
	v_cmp_ngt_f32_e32 vcc_lo, 0xc2b17218, v47
	v_cndmask_b32_e32 v46, 0x7f800000, v46, vcc_lo
	s_delay_alu instid0(VALU_DEP_1) | instskip(NEXT) | instid1(VALU_DEP_1)
	v_add_f32_e32 v46, 1.0, v46
	v_div_scale_f32 v47, null, v46, v46, 1.0
	s_delay_alu instid0(VALU_DEP_1) | instskip(SKIP_2) | instid1(VALU_DEP_1)
	v_rcp_f32_e32 v48, v47
	s_waitcnt_depctr 0xfff
	v_fma_f32 v49, -v47, v48, 1.0
	v_fmac_f32_e32 v48, v49, v48
	v_div_scale_f32 v49, vcc_lo, 1.0, v46, 1.0
	s_delay_alu instid0(VALU_DEP_1) | instskip(NEXT) | instid1(VALU_DEP_1)
	v_mul_f32_e32 v50, v49, v48
	v_fma_f32 v51, -v47, v50, v49
	s_delay_alu instid0(VALU_DEP_1) | instskip(NEXT) | instid1(VALU_DEP_1)
	v_fmac_f32_e32 v50, v51, v48
	v_fma_f32 v47, -v47, v50, v49
	s_delay_alu instid0(VALU_DEP_1) | instskip(NEXT) | instid1(VALU_DEP_1)
	v_div_fmas_f32 v47, v47, v48, v50
	v_div_fixup_f32 v46, v47, v46, 1.0
.LBB1_41:
	s_or_b32 exec_lo, exec_lo, s2
	v_lshlrev_b32_e32 v47, 16, v22
	s_mov_b32 s2, exec_lo
	s_delay_alu instid0(VALU_DEP_1)
	v_cmpx_o_f32_e32 v47, v47
	s_cbranch_execz .LBB1_43
; %bb.42:
	v_mul_f32_e32 v21, 0xbfb8aa3b, v47
	v_cmp_nlt_f32_e32 vcc_lo, 0x42ce8ed0, v47
	s_delay_alu instid0(VALU_DEP_2) | instskip(SKIP_1) | instid1(VALU_DEP_2)
	v_rndne_f32_e32 v48, v21
	v_fma_f32 v49, 0xbfb8aa3b, v47, -v21
	v_sub_f32_e32 v21, v21, v48
	s_delay_alu instid0(VALU_DEP_2) | instskip(SKIP_1) | instid1(VALU_DEP_2)
	v_fmamk_f32 v49, v47, 0xb2a5705f, v49
	v_cvt_i32_f32_e32 v48, v48
	v_add_f32_e32 v21, v21, v49
	s_delay_alu instid0(VALU_DEP_1) | instskip(SKIP_2) | instid1(VALU_DEP_1)
	v_exp_f32_e32 v21, v21
	s_waitcnt_depctr 0xfff
	v_ldexp_f32 v21, v21, v48
	v_cndmask_b32_e32 v21, 0, v21, vcc_lo
	v_cmp_ngt_f32_e32 vcc_lo, 0xc2b17218, v47
	s_delay_alu instid0(VALU_DEP_2) | instskip(NEXT) | instid1(VALU_DEP_1)
	v_cndmask_b32_e32 v21, 0x7f800000, v21, vcc_lo
	v_add_f32_e32 v21, 1.0, v21
	s_delay_alu instid0(VALU_DEP_1) | instskip(NEXT) | instid1(VALU_DEP_1)
	v_div_scale_f32 v47, null, v21, v21, 1.0
	v_rcp_f32_e32 v48, v47
	s_waitcnt_depctr 0xfff
	v_fma_f32 v49, -v47, v48, 1.0
	s_delay_alu instid0(VALU_DEP_1) | instskip(SKIP_1) | instid1(VALU_DEP_1)
	v_fmac_f32_e32 v48, v49, v48
	v_div_scale_f32 v49, vcc_lo, 1.0, v21, 1.0
	v_mul_f32_e32 v50, v49, v48
	s_delay_alu instid0(VALU_DEP_1) | instskip(NEXT) | instid1(VALU_DEP_1)
	v_fma_f32 v51, -v47, v50, v49
	v_fmac_f32_e32 v50, v51, v48
	s_delay_alu instid0(VALU_DEP_1) | instskip(NEXT) | instid1(VALU_DEP_1)
	v_fma_f32 v47, -v47, v50, v49
	v_div_fmas_f32 v47, v47, v48, v50
	s_delay_alu instid0(VALU_DEP_1)
	v_div_fixup_f32 v21, v47, v21, 1.0
.LBB1_43:
	s_or_b32 exec_lo, exec_lo, s2
	v_dual_mov_b32 v47, 0 :: v_dual_and_b32 v48, 0xffff0000, v22
	v_mov_b32_e32 v22, 0
	s_mov_b32 s2, exec_lo
	s_delay_alu instid0(VALU_DEP_2)
	v_cmpx_o_f32_e32 v48, v48
	s_cbranch_execz .LBB1_45
; %bb.44:
	v_mul_f32_e32 v47, 0xbfb8aa3b, v48
	v_cmp_nlt_f32_e32 vcc_lo, 0x42ce8ed0, v48
	s_delay_alu instid0(VALU_DEP_2) | instskip(SKIP_1) | instid1(VALU_DEP_1)
	v_rndne_f32_e32 v49, v47
	v_fma_f32 v50, 0xbfb8aa3b, v48, -v47
	v_dual_sub_f32 v47, v47, v49 :: v_dual_fmamk_f32 v50, v48, 0xb2a5705f, v50
	v_cvt_i32_f32_e32 v49, v49
	s_delay_alu instid0(VALU_DEP_2) | instskip(NEXT) | instid1(VALU_DEP_1)
	v_add_f32_e32 v47, v47, v50
	v_exp_f32_e32 v47, v47
	s_waitcnt_depctr 0xfff
	v_ldexp_f32 v47, v47, v49
	s_delay_alu instid0(VALU_DEP_1) | instskip(SKIP_1) | instid1(VALU_DEP_2)
	v_cndmask_b32_e32 v47, 0, v47, vcc_lo
	v_cmp_ngt_f32_e32 vcc_lo, 0xc2b17218, v48
	v_cndmask_b32_e32 v47, 0x7f800000, v47, vcc_lo
	s_delay_alu instid0(VALU_DEP_1) | instskip(NEXT) | instid1(VALU_DEP_1)
	v_add_f32_e32 v47, 1.0, v47
	v_div_scale_f32 v48, null, v47, v47, 1.0
	s_delay_alu instid0(VALU_DEP_1) | instskip(SKIP_2) | instid1(VALU_DEP_1)
	v_rcp_f32_e32 v49, v48
	s_waitcnt_depctr 0xfff
	v_fma_f32 v50, -v48, v49, 1.0
	v_fmac_f32_e32 v49, v50, v49
	v_div_scale_f32 v50, vcc_lo, 1.0, v47, 1.0
	s_delay_alu instid0(VALU_DEP_1) | instskip(NEXT) | instid1(VALU_DEP_1)
	v_mul_f32_e32 v51, v50, v49
	v_fma_f32 v52, -v48, v51, v50
	s_delay_alu instid0(VALU_DEP_1) | instskip(NEXT) | instid1(VALU_DEP_1)
	v_fmac_f32_e32 v51, v52, v49
	v_fma_f32 v48, -v48, v51, v50
	s_delay_alu instid0(VALU_DEP_1) | instskip(NEXT) | instid1(VALU_DEP_1)
	v_div_fmas_f32 v48, v48, v49, v51
	v_div_fixup_f32 v47, v48, v47, 1.0
.LBB1_45:
	s_or_b32 exec_lo, exec_lo, s2
	v_lshlrev_b32_e32 v48, 16, v23
	s_mov_b32 s2, exec_lo
	s_delay_alu instid0(VALU_DEP_1)
	v_cmpx_o_f32_e32 v48, v48
	s_cbranch_execz .LBB1_47
; %bb.46:
	v_mul_f32_e32 v22, 0xbfb8aa3b, v48
	v_cmp_nlt_f32_e32 vcc_lo, 0x42ce8ed0, v48
	s_delay_alu instid0(VALU_DEP_2) | instskip(SKIP_1) | instid1(VALU_DEP_2)
	v_rndne_f32_e32 v49, v22
	v_fma_f32 v50, 0xbfb8aa3b, v48, -v22
	v_sub_f32_e32 v22, v22, v49
	s_delay_alu instid0(VALU_DEP_2) | instskip(SKIP_1) | instid1(VALU_DEP_2)
	v_fmamk_f32 v50, v48, 0xb2a5705f, v50
	v_cvt_i32_f32_e32 v49, v49
	v_add_f32_e32 v22, v22, v50
	s_delay_alu instid0(VALU_DEP_1) | instskip(SKIP_2) | instid1(VALU_DEP_1)
	v_exp_f32_e32 v22, v22
	s_waitcnt_depctr 0xfff
	v_ldexp_f32 v22, v22, v49
	v_cndmask_b32_e32 v22, 0, v22, vcc_lo
	v_cmp_ngt_f32_e32 vcc_lo, 0xc2b17218, v48
	s_delay_alu instid0(VALU_DEP_2) | instskip(NEXT) | instid1(VALU_DEP_1)
	v_cndmask_b32_e32 v22, 0x7f800000, v22, vcc_lo
	v_add_f32_e32 v22, 1.0, v22
	s_delay_alu instid0(VALU_DEP_1) | instskip(NEXT) | instid1(VALU_DEP_1)
	v_div_scale_f32 v48, null, v22, v22, 1.0
	v_rcp_f32_e32 v49, v48
	s_waitcnt_depctr 0xfff
	v_fma_f32 v50, -v48, v49, 1.0
	s_delay_alu instid0(VALU_DEP_1) | instskip(SKIP_1) | instid1(VALU_DEP_1)
	v_fmac_f32_e32 v49, v50, v49
	v_div_scale_f32 v50, vcc_lo, 1.0, v22, 1.0
	v_mul_f32_e32 v51, v50, v49
	s_delay_alu instid0(VALU_DEP_1) | instskip(NEXT) | instid1(VALU_DEP_1)
	v_fma_f32 v52, -v48, v51, v50
	v_fmac_f32_e32 v51, v52, v49
	s_delay_alu instid0(VALU_DEP_1) | instskip(NEXT) | instid1(VALU_DEP_1)
	v_fma_f32 v48, -v48, v51, v50
	v_div_fmas_f32 v48, v48, v49, v51
	s_delay_alu instid0(VALU_DEP_1)
	v_div_fixup_f32 v22, v48, v22, 1.0
.LBB1_47:
	s_or_b32 exec_lo, exec_lo, s2
	v_dual_mov_b32 v48, 0 :: v_dual_and_b32 v49, 0xffff0000, v23
	v_mov_b32_e32 v23, 0
	s_mov_b32 s2, exec_lo
	s_delay_alu instid0(VALU_DEP_2)
	v_cmpx_o_f32_e32 v49, v49
	s_cbranch_execz .LBB1_49
; %bb.48:
	v_mul_f32_e32 v48, 0xbfb8aa3b, v49
	v_cmp_nlt_f32_e32 vcc_lo, 0x42ce8ed0, v49
	s_delay_alu instid0(VALU_DEP_2) | instskip(SKIP_1) | instid1(VALU_DEP_1)
	v_rndne_f32_e32 v50, v48
	v_fma_f32 v51, 0xbfb8aa3b, v49, -v48
	v_dual_sub_f32 v48, v48, v50 :: v_dual_fmamk_f32 v51, v49, 0xb2a5705f, v51
	v_cvt_i32_f32_e32 v50, v50
	s_delay_alu instid0(VALU_DEP_2) | instskip(NEXT) | instid1(VALU_DEP_1)
	v_add_f32_e32 v48, v48, v51
	v_exp_f32_e32 v48, v48
	s_waitcnt_depctr 0xfff
	v_ldexp_f32 v48, v48, v50
	s_delay_alu instid0(VALU_DEP_1) | instskip(SKIP_1) | instid1(VALU_DEP_2)
	v_cndmask_b32_e32 v48, 0, v48, vcc_lo
	v_cmp_ngt_f32_e32 vcc_lo, 0xc2b17218, v49
	v_cndmask_b32_e32 v48, 0x7f800000, v48, vcc_lo
	s_delay_alu instid0(VALU_DEP_1) | instskip(NEXT) | instid1(VALU_DEP_1)
	v_add_f32_e32 v48, 1.0, v48
	v_div_scale_f32 v49, null, v48, v48, 1.0
	s_delay_alu instid0(VALU_DEP_1) | instskip(SKIP_2) | instid1(VALU_DEP_1)
	v_rcp_f32_e32 v50, v49
	s_waitcnt_depctr 0xfff
	v_fma_f32 v51, -v49, v50, 1.0
	v_fmac_f32_e32 v50, v51, v50
	v_div_scale_f32 v51, vcc_lo, 1.0, v48, 1.0
	s_delay_alu instid0(VALU_DEP_1) | instskip(NEXT) | instid1(VALU_DEP_1)
	v_mul_f32_e32 v52, v51, v50
	v_fma_f32 v53, -v49, v52, v51
	s_delay_alu instid0(VALU_DEP_1) | instskip(NEXT) | instid1(VALU_DEP_1)
	v_fmac_f32_e32 v52, v53, v50
	v_fma_f32 v49, -v49, v52, v51
	s_delay_alu instid0(VALU_DEP_1) | instskip(NEXT) | instid1(VALU_DEP_1)
	v_div_fmas_f32 v49, v49, v50, v52
	v_div_fixup_f32 v48, v49, v48, 1.0
.LBB1_49:
	s_or_b32 exec_lo, exec_lo, s2
	v_lshlrev_b32_e32 v49, 16, v16
	s_mov_b32 s2, exec_lo
	s_delay_alu instid0(VALU_DEP_1)
	v_cmpx_o_f32_e32 v49, v49
	s_cbranch_execz .LBB1_51
; %bb.50:
	v_mul_f32_e32 v23, 0xbfb8aa3b, v49
	v_cmp_nlt_f32_e32 vcc_lo, 0x42ce8ed0, v49
	s_delay_alu instid0(VALU_DEP_2) | instskip(SKIP_1) | instid1(VALU_DEP_2)
	v_rndne_f32_e32 v50, v23
	v_fma_f32 v51, 0xbfb8aa3b, v49, -v23
	v_sub_f32_e32 v23, v23, v50
	s_delay_alu instid0(VALU_DEP_2) | instskip(SKIP_1) | instid1(VALU_DEP_2)
	v_fmamk_f32 v51, v49, 0xb2a5705f, v51
	v_cvt_i32_f32_e32 v50, v50
	v_add_f32_e32 v23, v23, v51
	s_delay_alu instid0(VALU_DEP_1) | instskip(SKIP_2) | instid1(VALU_DEP_1)
	v_exp_f32_e32 v23, v23
	s_waitcnt_depctr 0xfff
	v_ldexp_f32 v23, v23, v50
	v_cndmask_b32_e32 v23, 0, v23, vcc_lo
	v_cmp_ngt_f32_e32 vcc_lo, 0xc2b17218, v49
	s_delay_alu instid0(VALU_DEP_2) | instskip(NEXT) | instid1(VALU_DEP_1)
	v_cndmask_b32_e32 v23, 0x7f800000, v23, vcc_lo
	v_add_f32_e32 v23, 1.0, v23
	s_delay_alu instid0(VALU_DEP_1) | instskip(NEXT) | instid1(VALU_DEP_1)
	v_div_scale_f32 v49, null, v23, v23, 1.0
	v_rcp_f32_e32 v50, v49
	s_waitcnt_depctr 0xfff
	v_fma_f32 v51, -v49, v50, 1.0
	s_delay_alu instid0(VALU_DEP_1) | instskip(SKIP_1) | instid1(VALU_DEP_1)
	v_fmac_f32_e32 v50, v51, v50
	v_div_scale_f32 v51, vcc_lo, 1.0, v23, 1.0
	v_mul_f32_e32 v52, v51, v50
	s_delay_alu instid0(VALU_DEP_1) | instskip(NEXT) | instid1(VALU_DEP_1)
	v_fma_f32 v53, -v49, v52, v51
	v_fmac_f32_e32 v52, v53, v50
	s_delay_alu instid0(VALU_DEP_1) | instskip(NEXT) | instid1(VALU_DEP_1)
	v_fma_f32 v49, -v49, v52, v51
	v_div_fmas_f32 v49, v49, v50, v52
	s_delay_alu instid0(VALU_DEP_1)
	v_div_fixup_f32 v23, v49, v23, 1.0
.LBB1_51:
	s_or_b32 exec_lo, exec_lo, s2
	v_dual_mov_b32 v49, 0 :: v_dual_and_b32 v50, 0xffff0000, v16
	v_mov_b32_e32 v16, 0
	s_mov_b32 s2, exec_lo
	s_delay_alu instid0(VALU_DEP_2)
	v_cmpx_o_f32_e32 v50, v50
	s_cbranch_execz .LBB1_53
; %bb.52:
	v_mul_f32_e32 v49, 0xbfb8aa3b, v50
	v_cmp_nlt_f32_e32 vcc_lo, 0x42ce8ed0, v50
	s_delay_alu instid0(VALU_DEP_2) | instskip(SKIP_1) | instid1(VALU_DEP_1)
	v_rndne_f32_e32 v51, v49
	v_fma_f32 v52, 0xbfb8aa3b, v50, -v49
	v_dual_sub_f32 v49, v49, v51 :: v_dual_fmamk_f32 v52, v50, 0xb2a5705f, v52
	v_cvt_i32_f32_e32 v51, v51
	s_delay_alu instid0(VALU_DEP_2) | instskip(NEXT) | instid1(VALU_DEP_1)
	v_add_f32_e32 v49, v49, v52
	v_exp_f32_e32 v49, v49
	s_waitcnt_depctr 0xfff
	v_ldexp_f32 v49, v49, v51
	s_delay_alu instid0(VALU_DEP_1) | instskip(SKIP_1) | instid1(VALU_DEP_2)
	v_cndmask_b32_e32 v49, 0, v49, vcc_lo
	v_cmp_ngt_f32_e32 vcc_lo, 0xc2b17218, v50
	v_cndmask_b32_e32 v49, 0x7f800000, v49, vcc_lo
	s_delay_alu instid0(VALU_DEP_1) | instskip(NEXT) | instid1(VALU_DEP_1)
	v_add_f32_e32 v49, 1.0, v49
	v_div_scale_f32 v50, null, v49, v49, 1.0
	s_delay_alu instid0(VALU_DEP_1) | instskip(SKIP_2) | instid1(VALU_DEP_1)
	v_rcp_f32_e32 v51, v50
	s_waitcnt_depctr 0xfff
	v_fma_f32 v52, -v50, v51, 1.0
	v_fmac_f32_e32 v51, v52, v51
	v_div_scale_f32 v52, vcc_lo, 1.0, v49, 1.0
	s_delay_alu instid0(VALU_DEP_1) | instskip(NEXT) | instid1(VALU_DEP_1)
	v_mul_f32_e32 v53, v52, v51
	v_fma_f32 v54, -v50, v53, v52
	s_delay_alu instid0(VALU_DEP_1) | instskip(NEXT) | instid1(VALU_DEP_1)
	v_fmac_f32_e32 v53, v54, v51
	v_fma_f32 v50, -v50, v53, v52
	s_delay_alu instid0(VALU_DEP_1) | instskip(NEXT) | instid1(VALU_DEP_1)
	v_div_fmas_f32 v50, v50, v51, v53
	v_div_fixup_f32 v49, v50, v49, 1.0
.LBB1_53:
	s_or_b32 exec_lo, exec_lo, s2
	v_lshlrev_b32_e32 v50, 16, v17
	s_mov_b32 s2, exec_lo
	s_delay_alu instid0(VALU_DEP_1)
	v_cmpx_o_f32_e32 v50, v50
	s_cbranch_execz .LBB1_55
; %bb.54:
	v_mul_f32_e32 v16, 0xbfb8aa3b, v50
	v_cmp_nlt_f32_e32 vcc_lo, 0x42ce8ed0, v50
	s_delay_alu instid0(VALU_DEP_2) | instskip(SKIP_1) | instid1(VALU_DEP_2)
	v_rndne_f32_e32 v51, v16
	v_fma_f32 v52, 0xbfb8aa3b, v50, -v16
	v_sub_f32_e32 v16, v16, v51
	s_delay_alu instid0(VALU_DEP_2) | instskip(SKIP_1) | instid1(VALU_DEP_2)
	v_fmamk_f32 v52, v50, 0xb2a5705f, v52
	v_cvt_i32_f32_e32 v51, v51
	v_add_f32_e32 v16, v16, v52
	s_delay_alu instid0(VALU_DEP_1) | instskip(SKIP_2) | instid1(VALU_DEP_1)
	v_exp_f32_e32 v16, v16
	s_waitcnt_depctr 0xfff
	v_ldexp_f32 v16, v16, v51
	v_cndmask_b32_e32 v16, 0, v16, vcc_lo
	v_cmp_ngt_f32_e32 vcc_lo, 0xc2b17218, v50
	s_delay_alu instid0(VALU_DEP_2) | instskip(NEXT) | instid1(VALU_DEP_1)
	v_cndmask_b32_e32 v16, 0x7f800000, v16, vcc_lo
	v_add_f32_e32 v16, 1.0, v16
	s_delay_alu instid0(VALU_DEP_1) | instskip(NEXT) | instid1(VALU_DEP_1)
	v_div_scale_f32 v50, null, v16, v16, 1.0
	v_rcp_f32_e32 v51, v50
	s_waitcnt_depctr 0xfff
	v_fma_f32 v52, -v50, v51, 1.0
	s_delay_alu instid0(VALU_DEP_1) | instskip(SKIP_1) | instid1(VALU_DEP_1)
	v_fmac_f32_e32 v51, v52, v51
	v_div_scale_f32 v52, vcc_lo, 1.0, v16, 1.0
	v_mul_f32_e32 v53, v52, v51
	s_delay_alu instid0(VALU_DEP_1) | instskip(NEXT) | instid1(VALU_DEP_1)
	v_fma_f32 v54, -v50, v53, v52
	v_fmac_f32_e32 v53, v54, v51
	s_delay_alu instid0(VALU_DEP_1) | instskip(NEXT) | instid1(VALU_DEP_1)
	v_fma_f32 v50, -v50, v53, v52
	v_div_fmas_f32 v50, v50, v51, v53
	s_delay_alu instid0(VALU_DEP_1)
	v_div_fixup_f32 v16, v50, v16, 1.0
.LBB1_55:
	s_or_b32 exec_lo, exec_lo, s2
	v_dual_mov_b32 v50, 0 :: v_dual_and_b32 v51, 0xffff0000, v17
	v_mov_b32_e32 v17, 0
	s_mov_b32 s2, exec_lo
	s_delay_alu instid0(VALU_DEP_2)
	v_cmpx_o_f32_e32 v51, v51
	s_cbranch_execz .LBB1_57
; %bb.56:
	v_mul_f32_e32 v50, 0xbfb8aa3b, v51
	v_cmp_nlt_f32_e32 vcc_lo, 0x42ce8ed0, v51
	s_delay_alu instid0(VALU_DEP_2) | instskip(SKIP_1) | instid1(VALU_DEP_1)
	v_rndne_f32_e32 v52, v50
	v_fma_f32 v53, 0xbfb8aa3b, v51, -v50
	v_dual_sub_f32 v50, v50, v52 :: v_dual_fmamk_f32 v53, v51, 0xb2a5705f, v53
	v_cvt_i32_f32_e32 v52, v52
	s_delay_alu instid0(VALU_DEP_2) | instskip(NEXT) | instid1(VALU_DEP_1)
	v_add_f32_e32 v50, v50, v53
	v_exp_f32_e32 v50, v50
	s_waitcnt_depctr 0xfff
	v_ldexp_f32 v50, v50, v52
	s_delay_alu instid0(VALU_DEP_1) | instskip(SKIP_1) | instid1(VALU_DEP_2)
	v_cndmask_b32_e32 v50, 0, v50, vcc_lo
	v_cmp_ngt_f32_e32 vcc_lo, 0xc2b17218, v51
	v_cndmask_b32_e32 v50, 0x7f800000, v50, vcc_lo
	s_delay_alu instid0(VALU_DEP_1) | instskip(NEXT) | instid1(VALU_DEP_1)
	v_add_f32_e32 v50, 1.0, v50
	v_div_scale_f32 v51, null, v50, v50, 1.0
	s_delay_alu instid0(VALU_DEP_1) | instskip(SKIP_2) | instid1(VALU_DEP_1)
	v_rcp_f32_e32 v52, v51
	s_waitcnt_depctr 0xfff
	v_fma_f32 v53, -v51, v52, 1.0
	v_fmac_f32_e32 v52, v53, v52
	v_div_scale_f32 v53, vcc_lo, 1.0, v50, 1.0
	s_delay_alu instid0(VALU_DEP_1) | instskip(NEXT) | instid1(VALU_DEP_1)
	v_mul_f32_e32 v54, v53, v52
	v_fma_f32 v55, -v51, v54, v53
	s_delay_alu instid0(VALU_DEP_1) | instskip(NEXT) | instid1(VALU_DEP_1)
	v_fmac_f32_e32 v54, v55, v52
	v_fma_f32 v51, -v51, v54, v53
	s_delay_alu instid0(VALU_DEP_1) | instskip(NEXT) | instid1(VALU_DEP_1)
	v_div_fmas_f32 v51, v51, v52, v54
	v_div_fixup_f32 v50, v51, v50, 1.0
.LBB1_57:
	s_or_b32 exec_lo, exec_lo, s2
	v_lshlrev_b32_e32 v51, 16, v18
	s_mov_b32 s2, exec_lo
	s_delay_alu instid0(VALU_DEP_1)
	v_cmpx_o_f32_e32 v51, v51
	s_cbranch_execz .LBB1_59
; %bb.58:
	v_mul_f32_e32 v17, 0xbfb8aa3b, v51
	v_cmp_nlt_f32_e32 vcc_lo, 0x42ce8ed0, v51
	s_delay_alu instid0(VALU_DEP_2) | instskip(SKIP_1) | instid1(VALU_DEP_2)
	v_rndne_f32_e32 v52, v17
	v_fma_f32 v53, 0xbfb8aa3b, v51, -v17
	v_sub_f32_e32 v17, v17, v52
	s_delay_alu instid0(VALU_DEP_2) | instskip(SKIP_1) | instid1(VALU_DEP_2)
	v_fmamk_f32 v53, v51, 0xb2a5705f, v53
	v_cvt_i32_f32_e32 v52, v52
	v_add_f32_e32 v17, v17, v53
	s_delay_alu instid0(VALU_DEP_1) | instskip(SKIP_2) | instid1(VALU_DEP_1)
	v_exp_f32_e32 v17, v17
	s_waitcnt_depctr 0xfff
	v_ldexp_f32 v17, v17, v52
	v_cndmask_b32_e32 v17, 0, v17, vcc_lo
	v_cmp_ngt_f32_e32 vcc_lo, 0xc2b17218, v51
	s_delay_alu instid0(VALU_DEP_2) | instskip(NEXT) | instid1(VALU_DEP_1)
	v_cndmask_b32_e32 v17, 0x7f800000, v17, vcc_lo
	v_add_f32_e32 v17, 1.0, v17
	s_delay_alu instid0(VALU_DEP_1) | instskip(NEXT) | instid1(VALU_DEP_1)
	v_div_scale_f32 v51, null, v17, v17, 1.0
	v_rcp_f32_e32 v52, v51
	s_waitcnt_depctr 0xfff
	v_fma_f32 v53, -v51, v52, 1.0
	s_delay_alu instid0(VALU_DEP_1) | instskip(SKIP_1) | instid1(VALU_DEP_1)
	v_fmac_f32_e32 v52, v53, v52
	v_div_scale_f32 v53, vcc_lo, 1.0, v17, 1.0
	v_mul_f32_e32 v54, v53, v52
	s_delay_alu instid0(VALU_DEP_1) | instskip(NEXT) | instid1(VALU_DEP_1)
	v_fma_f32 v55, -v51, v54, v53
	v_fmac_f32_e32 v54, v55, v52
	s_delay_alu instid0(VALU_DEP_1) | instskip(NEXT) | instid1(VALU_DEP_1)
	v_fma_f32 v51, -v51, v54, v53
	v_div_fmas_f32 v51, v51, v52, v54
	s_delay_alu instid0(VALU_DEP_1)
	v_div_fixup_f32 v17, v51, v17, 1.0
.LBB1_59:
	s_or_b32 exec_lo, exec_lo, s2
	v_dual_mov_b32 v51, 0 :: v_dual_and_b32 v52, 0xffff0000, v18
	v_mov_b32_e32 v18, 0
	s_mov_b32 s2, exec_lo
	s_delay_alu instid0(VALU_DEP_2)
	v_cmpx_o_f32_e32 v52, v52
	s_cbranch_execz .LBB1_61
; %bb.60:
	v_mul_f32_e32 v51, 0xbfb8aa3b, v52
	v_cmp_nlt_f32_e32 vcc_lo, 0x42ce8ed0, v52
	s_delay_alu instid0(VALU_DEP_2) | instskip(SKIP_1) | instid1(VALU_DEP_1)
	v_rndne_f32_e32 v53, v51
	v_fma_f32 v54, 0xbfb8aa3b, v52, -v51
	v_dual_sub_f32 v51, v51, v53 :: v_dual_fmamk_f32 v54, v52, 0xb2a5705f, v54
	v_cvt_i32_f32_e32 v53, v53
	s_delay_alu instid0(VALU_DEP_2) | instskip(NEXT) | instid1(VALU_DEP_1)
	v_add_f32_e32 v51, v51, v54
	v_exp_f32_e32 v51, v51
	s_waitcnt_depctr 0xfff
	v_ldexp_f32 v51, v51, v53
	s_delay_alu instid0(VALU_DEP_1) | instskip(SKIP_1) | instid1(VALU_DEP_2)
	v_cndmask_b32_e32 v51, 0, v51, vcc_lo
	v_cmp_ngt_f32_e32 vcc_lo, 0xc2b17218, v52
	v_cndmask_b32_e32 v51, 0x7f800000, v51, vcc_lo
	s_delay_alu instid0(VALU_DEP_1) | instskip(NEXT) | instid1(VALU_DEP_1)
	v_add_f32_e32 v51, 1.0, v51
	v_div_scale_f32 v52, null, v51, v51, 1.0
	s_delay_alu instid0(VALU_DEP_1) | instskip(SKIP_2) | instid1(VALU_DEP_1)
	v_rcp_f32_e32 v53, v52
	s_waitcnt_depctr 0xfff
	v_fma_f32 v54, -v52, v53, 1.0
	v_fmac_f32_e32 v53, v54, v53
	v_div_scale_f32 v54, vcc_lo, 1.0, v51, 1.0
	s_delay_alu instid0(VALU_DEP_1) | instskip(NEXT) | instid1(VALU_DEP_1)
	v_mul_f32_e32 v55, v54, v53
	v_fma_f32 v56, -v52, v55, v54
	s_delay_alu instid0(VALU_DEP_1) | instskip(NEXT) | instid1(VALU_DEP_1)
	v_fmac_f32_e32 v55, v56, v53
	v_fma_f32 v52, -v52, v55, v54
	s_delay_alu instid0(VALU_DEP_1) | instskip(NEXT) | instid1(VALU_DEP_1)
	v_div_fmas_f32 v52, v52, v53, v55
	v_div_fixup_f32 v51, v52, v51, 1.0
.LBB1_61:
	s_or_b32 exec_lo, exec_lo, s2
	v_lshlrev_b32_e32 v52, 16, v19
	s_mov_b32 s2, exec_lo
	s_delay_alu instid0(VALU_DEP_1)
	v_cmpx_o_f32_e32 v52, v52
	s_cbranch_execz .LBB1_63
; %bb.62:
	v_mul_f32_e32 v18, 0xbfb8aa3b, v52
	v_cmp_nlt_f32_e32 vcc_lo, 0x42ce8ed0, v52
	s_delay_alu instid0(VALU_DEP_2) | instskip(SKIP_1) | instid1(VALU_DEP_2)
	v_rndne_f32_e32 v53, v18
	v_fma_f32 v54, 0xbfb8aa3b, v52, -v18
	v_sub_f32_e32 v18, v18, v53
	s_delay_alu instid0(VALU_DEP_2) | instskip(SKIP_1) | instid1(VALU_DEP_2)
	v_fmamk_f32 v54, v52, 0xb2a5705f, v54
	v_cvt_i32_f32_e32 v53, v53
	v_add_f32_e32 v18, v18, v54
	s_delay_alu instid0(VALU_DEP_1) | instskip(SKIP_2) | instid1(VALU_DEP_1)
	v_exp_f32_e32 v18, v18
	s_waitcnt_depctr 0xfff
	v_ldexp_f32 v18, v18, v53
	v_cndmask_b32_e32 v18, 0, v18, vcc_lo
	v_cmp_ngt_f32_e32 vcc_lo, 0xc2b17218, v52
	s_delay_alu instid0(VALU_DEP_2) | instskip(NEXT) | instid1(VALU_DEP_1)
	v_cndmask_b32_e32 v18, 0x7f800000, v18, vcc_lo
	v_add_f32_e32 v18, 1.0, v18
	s_delay_alu instid0(VALU_DEP_1) | instskip(NEXT) | instid1(VALU_DEP_1)
	v_div_scale_f32 v52, null, v18, v18, 1.0
	v_rcp_f32_e32 v53, v52
	s_waitcnt_depctr 0xfff
	v_fma_f32 v54, -v52, v53, 1.0
	s_delay_alu instid0(VALU_DEP_1) | instskip(SKIP_1) | instid1(VALU_DEP_1)
	v_fmac_f32_e32 v53, v54, v53
	v_div_scale_f32 v54, vcc_lo, 1.0, v18, 1.0
	v_mul_f32_e32 v55, v54, v53
	s_delay_alu instid0(VALU_DEP_1) | instskip(NEXT) | instid1(VALU_DEP_1)
	v_fma_f32 v56, -v52, v55, v54
	v_fmac_f32_e32 v55, v56, v53
	s_delay_alu instid0(VALU_DEP_1) | instskip(NEXT) | instid1(VALU_DEP_1)
	v_fma_f32 v52, -v52, v55, v54
	v_div_fmas_f32 v52, v52, v53, v55
	s_delay_alu instid0(VALU_DEP_1)
	v_div_fixup_f32 v18, v52, v18, 1.0
.LBB1_63:
	s_or_b32 exec_lo, exec_lo, s2
	v_dual_mov_b32 v19, 0 :: v_dual_and_b32 v52, 0xffff0000, v19
	s_mov_b32 s2, exec_lo
	s_delay_alu instid0(VALU_DEP_1)
	v_cmpx_o_f32_e32 v52, v52
	s_cbranch_execz .LBB1_65
; %bb.64:
	v_mul_f32_e32 v19, 0xbfb8aa3b, v52
	v_cmp_nlt_f32_e32 vcc_lo, 0x42ce8ed0, v52
	s_delay_alu instid0(VALU_DEP_2) | instskip(SKIP_1) | instid1(VALU_DEP_1)
	v_rndne_f32_e32 v53, v19
	v_fma_f32 v54, 0xbfb8aa3b, v52, -v19
	v_dual_sub_f32 v19, v19, v53 :: v_dual_fmamk_f32 v54, v52, 0xb2a5705f, v54
	v_cvt_i32_f32_e32 v53, v53
	s_delay_alu instid0(VALU_DEP_2) | instskip(NEXT) | instid1(VALU_DEP_1)
	v_add_f32_e32 v19, v19, v54
	v_exp_f32_e32 v19, v19
	s_waitcnt_depctr 0xfff
	v_ldexp_f32 v19, v19, v53
	s_delay_alu instid0(VALU_DEP_1) | instskip(SKIP_1) | instid1(VALU_DEP_2)
	v_cndmask_b32_e32 v19, 0, v19, vcc_lo
	v_cmp_ngt_f32_e32 vcc_lo, 0xc2b17218, v52
	v_cndmask_b32_e32 v19, 0x7f800000, v19, vcc_lo
	s_delay_alu instid0(VALU_DEP_1) | instskip(NEXT) | instid1(VALU_DEP_1)
	v_add_f32_e32 v19, 1.0, v19
	v_div_scale_f32 v52, null, v19, v19, 1.0
	s_delay_alu instid0(VALU_DEP_1) | instskip(SKIP_2) | instid1(VALU_DEP_1)
	v_rcp_f32_e32 v53, v52
	s_waitcnt_depctr 0xfff
	v_fma_f32 v54, -v52, v53, 1.0
	v_fmac_f32_e32 v53, v54, v53
	v_div_scale_f32 v54, vcc_lo, 1.0, v19, 1.0
	s_delay_alu instid0(VALU_DEP_1) | instskip(NEXT) | instid1(VALU_DEP_1)
	v_mul_f32_e32 v55, v54, v53
	v_fma_f32 v56, -v52, v55, v54
	s_delay_alu instid0(VALU_DEP_1) | instskip(NEXT) | instid1(VALU_DEP_1)
	v_fmac_f32_e32 v55, v56, v53
	v_fma_f32 v52, -v52, v55, v54
	s_delay_alu instid0(VALU_DEP_1) | instskip(NEXT) | instid1(VALU_DEP_1)
	v_div_fmas_f32 v52, v52, v53, v55
	v_div_fixup_f32 v19, v52, v19, 1.0
.LBB1_65:
	s_or_b32 exec_lo, exec_lo, s2
	s_waitcnt vmcnt(0)
	v_lshlrev_b32_e32 v52, 16, v12
	v_and_b32_e32 v53, 0xffff0000, v12
	s_mov_b32 s2, exec_lo
	s_delay_alu instid0(VALU_DEP_2) | instskip(NEXT) | instid1(VALU_DEP_1)
	v_add_f32_e32 v12, v35, v52
	v_dual_add_f32 v52, v36, v53 :: v_dual_max_f32 v53, 0xff7fffff, v12
	s_delay_alu instid0(VALU_DEP_1) | instskip(NEXT) | instid1(VALU_DEP_2)
	v_mov_b32_e32 v56, v52
	v_mov_b32_e32 v54, v53
	v_cmpx_ngt_f32_e32 v52, v53
	s_cbranch_execz .LBB1_69
; %bb.66:
	v_mov_b32_e32 v54, 0xff7fffff
	s_mov_b32 s3, exec_lo
	v_cmpx_lt_f32_e32 0xff7fffff, v52
; %bb.67:
	v_mov_b32_e32 v54, v52
; %bb.68:
	s_or_b32 exec_lo, exec_lo, s3
	v_mov_b32_e32 v56, v53
.LBB1_69:
	s_or_b32 exec_lo, exec_lo, s2
	v_lshlrev_b32_e32 v53, 16, v13
	s_delay_alu instid0(VALU_DEP_2) | instskip(SKIP_1) | instid1(VALU_DEP_2)
	v_mov_b32_e32 v55, v56
	s_mov_b32 s2, exec_lo
	v_add_f32_e32 v53, v28, v53
	s_delay_alu instid0(VALU_DEP_1)
	v_mov_b32_e32 v57, v53
	v_cmpx_ngt_f32_e32 v53, v56
	s_cbranch_execz .LBB1_73
; %bb.70:
	s_mov_b32 s3, exec_lo
	v_cmpx_gt_f32_e32 v53, v54
; %bb.71:
	v_mov_b32_e32 v54, v53
; %bb.72:
	s_or_b32 exec_lo, exec_lo, s3
	s_delay_alu instid0(VALU_DEP_1)
	v_mov_b32_e32 v55, v54
	v_mov_b32_e32 v57, v56
.LBB1_73:
	s_or_b32 exec_lo, exec_lo, s2
	s_delay_alu instid0(VALU_DEP_1) | instskip(SKIP_1) | instid1(VALU_DEP_1)
	v_dual_mov_b32 v56, v57 :: v_dual_and_b32 v13, 0xffff0000, v13
	s_mov_b32 s2, exec_lo
	v_add_f32_e32 v13, v37, v13
	s_delay_alu instid0(VALU_DEP_1)
	v_mov_b32_e32 v58, v13
	v_cmpx_ngt_f32_e32 v13, v57
	s_cbranch_execz .LBB1_77
; %bb.74:
	s_mov_b32 s3, exec_lo
	v_cmpx_gt_f32_e32 v13, v55
; %bb.75:
	v_mov_b32_e32 v55, v13
; %bb.76:
	s_or_b32 exec_lo, exec_lo, s3
	s_delay_alu instid0(VALU_DEP_1)
	v_mov_b32_e32 v56, v55
	v_mov_b32_e32 v58, v57
.LBB1_77:
	s_or_b32 exec_lo, exec_lo, s2
	s_delay_alu instid0(VALU_DEP_1) | instskip(SKIP_1) | instid1(VALU_DEP_1)
	v_dual_mov_b32 v55, v58 :: v_dual_lshlrev_b32 v54, 16, v14
	s_mov_b32 s2, exec_lo
	v_add_f32_e32 v54, v29, v54
	s_delay_alu instid0(VALU_DEP_1)
	v_mov_b32_e32 v57, v54
	v_cmpx_ngt_f32_e32 v54, v58
	s_cbranch_execz .LBB1_81
; %bb.78:
	s_mov_b32 s3, exec_lo
	v_cmpx_gt_f32_e32 v54, v56
; %bb.79:
	v_mov_b32_e32 v56, v54
; %bb.80:
	s_or_b32 exec_lo, exec_lo, s3
	s_delay_alu instid0(VALU_DEP_1)
	v_mov_b32_e32 v55, v56
	v_mov_b32_e32 v57, v58
.LBB1_81:
	s_or_b32 exec_lo, exec_lo, s2
	v_and_b32_e32 v14, 0xffff0000, v14
	s_delay_alu instid0(VALU_DEP_2) | instskip(SKIP_1) | instid1(VALU_DEP_2)
	v_mov_b32_e32 v56, v57
	s_mov_b32 s2, exec_lo
	v_add_f32_e32 v14, v38, v14
	s_delay_alu instid0(VALU_DEP_1)
	v_mov_b32_e32 v58, v14
	v_cmpx_ngt_f32_e32 v14, v57
	s_cbranch_execz .LBB1_85
; %bb.82:
	s_mov_b32 s3, exec_lo
	v_cmpx_gt_f32_e32 v14, v55
; %bb.83:
	v_mov_b32_e32 v55, v14
; %bb.84:
	s_or_b32 exec_lo, exec_lo, s3
	s_delay_alu instid0(VALU_DEP_1)
	v_mov_b32_e32 v56, v55
	v_mov_b32_e32 v58, v57
.LBB1_85:
	s_or_b32 exec_lo, exec_lo, s2
	v_lshlrev_b32_e32 v55, 16, v15
	s_delay_alu instid0(VALU_DEP_2) | instskip(SKIP_1) | instid1(VALU_DEP_2)
	v_mov_b32_e32 v57, v58
	s_mov_b32 s2, exec_lo
	v_add_f32_e32 v55, v30, v55
	s_delay_alu instid0(VALU_DEP_1)
	v_mov_b32_e32 v59, v55
	v_cmpx_ngt_f32_e32 v55, v58
	s_cbranch_execz .LBB1_89
; %bb.86:
	s_mov_b32 s3, exec_lo
	v_cmpx_gt_f32_e32 v55, v56
; %bb.87:
	v_mov_b32_e32 v56, v55
; %bb.88:
	s_or_b32 exec_lo, exec_lo, s3
	s_delay_alu instid0(VALU_DEP_1)
	v_mov_b32_e32 v57, v56
	v_mov_b32_e32 v59, v58
.LBB1_89:
	s_or_b32 exec_lo, exec_lo, s2
	s_delay_alu instid0(VALU_DEP_1) | instskip(SKIP_1) | instid1(VALU_DEP_1)
	v_dual_mov_b32 v58, v59 :: v_dual_and_b32 v15, 0xffff0000, v15
	s_mov_b32 s2, exec_lo
	v_add_f32_e32 v15, v39, v15
	s_delay_alu instid0(VALU_DEP_1)
	v_mov_b32_e32 v60, v15
	v_cmpx_ngt_f32_e32 v15, v59
	s_cbranch_execz .LBB1_93
; %bb.90:
	s_mov_b32 s3, exec_lo
	v_cmpx_gt_f32_e32 v15, v57
; %bb.91:
	v_mov_b32_e32 v57, v15
; %bb.92:
	s_or_b32 exec_lo, exec_lo, s3
	s_delay_alu instid0(VALU_DEP_1)
	v_mov_b32_e32 v58, v57
	v_mov_b32_e32 v60, v59
.LBB1_93:
	s_or_b32 exec_lo, exec_lo, s2
	s_delay_alu instid0(VALU_DEP_1) | instskip(SKIP_1) | instid1(VALU_DEP_1)
	v_dual_mov_b32 v57, v60 :: v_dual_lshlrev_b32 v56, 16, v8
	s_mov_b32 s2, exec_lo
	v_add_f32_e32 v56, v31, v56
	s_delay_alu instid0(VALU_DEP_1)
	v_mov_b32_e32 v59, v56
	v_cmpx_ngt_f32_e32 v56, v60
	s_cbranch_execz .LBB1_97
; %bb.94:
	s_mov_b32 s3, exec_lo
	v_cmpx_gt_f32_e32 v56, v58
; %bb.95:
	v_mov_b32_e32 v58, v56
; %bb.96:
	s_or_b32 exec_lo, exec_lo, s3
	s_delay_alu instid0(VALU_DEP_1)
	v_mov_b32_e32 v57, v58
	v_mov_b32_e32 v59, v60
.LBB1_97:
	s_or_b32 exec_lo, exec_lo, s2
	v_and_b32_e32 v8, 0xffff0000, v8
	s_delay_alu instid0(VALU_DEP_2) | instskip(SKIP_1) | instid1(VALU_DEP_2)
	v_mov_b32_e32 v58, v59
	s_mov_b32 s2, exec_lo
	v_add_f32_e32 v8, v40, v8
	s_delay_alu instid0(VALU_DEP_1)
	v_mov_b32_e32 v60, v8
	v_cmpx_ngt_f32_e32 v8, v59
	s_cbranch_execz .LBB1_101
; %bb.98:
	s_mov_b32 s3, exec_lo
	v_cmpx_gt_f32_e32 v8, v57
; %bb.99:
	v_mov_b32_e32 v57, v8
; %bb.100:
	s_or_b32 exec_lo, exec_lo, s3
	s_delay_alu instid0(VALU_DEP_1)
	v_mov_b32_e32 v58, v57
	v_mov_b32_e32 v60, v59
.LBB1_101:
	s_or_b32 exec_lo, exec_lo, s2
	v_lshlrev_b32_e32 v57, 16, v9
	s_delay_alu instid0(VALU_DEP_2) | instskip(SKIP_1) | instid1(VALU_DEP_2)
	v_mov_b32_e32 v59, v60
	s_mov_b32 s2, exec_lo
	v_add_f32_e32 v57, v24, v57
	s_delay_alu instid0(VALU_DEP_1)
	v_mov_b32_e32 v61, v57
	v_cmpx_ngt_f32_e32 v57, v60
	s_cbranch_execz .LBB1_105
; %bb.102:
	s_mov_b32 s3, exec_lo
	v_cmpx_gt_f32_e32 v57, v58
; %bb.103:
	v_mov_b32_e32 v58, v57
; %bb.104:
	s_or_b32 exec_lo, exec_lo, s3
	s_delay_alu instid0(VALU_DEP_1)
	v_mov_b32_e32 v59, v58
	v_mov_b32_e32 v61, v60
.LBB1_105:
	s_or_b32 exec_lo, exec_lo, s2
	s_delay_alu instid0(VALU_DEP_1) | instskip(SKIP_1) | instid1(VALU_DEP_1)
	v_dual_mov_b32 v60, v61 :: v_dual_and_b32 v9, 0xffff0000, v9
	s_mov_b32 s2, exec_lo
	v_add_f32_e32 v9, v41, v9
	s_delay_alu instid0(VALU_DEP_1)
	v_mov_b32_e32 v62, v9
	v_cmpx_ngt_f32_e32 v9, v61
	s_cbranch_execz .LBB1_109
; %bb.106:
	s_mov_b32 s3, exec_lo
	v_cmpx_gt_f32_e32 v9, v59
; %bb.107:
	v_mov_b32_e32 v59, v9
; %bb.108:
	s_or_b32 exec_lo, exec_lo, s3
	s_delay_alu instid0(VALU_DEP_1)
	v_mov_b32_e32 v60, v59
	v_mov_b32_e32 v62, v61
.LBB1_109:
	s_or_b32 exec_lo, exec_lo, s2
	s_delay_alu instid0(VALU_DEP_1) | instskip(SKIP_1) | instid1(VALU_DEP_1)
	v_dual_mov_b32 v59, v62 :: v_dual_lshlrev_b32 v58, 16, v10
	s_mov_b32 s2, exec_lo
	v_add_f32_e32 v58, v25, v58
	s_delay_alu instid0(VALU_DEP_1)
	v_mov_b32_e32 v61, v58
	v_cmpx_ngt_f32_e32 v58, v62
	s_cbranch_execz .LBB1_113
; %bb.110:
	s_mov_b32 s3, exec_lo
	v_cmpx_gt_f32_e32 v58, v60
; %bb.111:
	v_mov_b32_e32 v60, v58
; %bb.112:
	s_or_b32 exec_lo, exec_lo, s3
	s_delay_alu instid0(VALU_DEP_1)
	v_mov_b32_e32 v59, v60
	v_mov_b32_e32 v61, v62
.LBB1_113:
	s_or_b32 exec_lo, exec_lo, s2
	v_and_b32_e32 v10, 0xffff0000, v10
	s_delay_alu instid0(VALU_DEP_2) | instskip(SKIP_1) | instid1(VALU_DEP_2)
	v_mov_b32_e32 v60, v61
	s_mov_b32 s2, exec_lo
	v_add_f32_e32 v10, v43, v10
	s_delay_alu instid0(VALU_DEP_1)
	v_mov_b32_e32 v62, v10
	v_cmpx_ngt_f32_e32 v10, v61
	s_cbranch_execz .LBB1_117
; %bb.114:
	s_mov_b32 s3, exec_lo
	v_cmpx_gt_f32_e32 v10, v59
; %bb.115:
	v_mov_b32_e32 v59, v10
; %bb.116:
	s_or_b32 exec_lo, exec_lo, s3
	s_delay_alu instid0(VALU_DEP_1)
	v_mov_b32_e32 v60, v59
	v_mov_b32_e32 v62, v61
.LBB1_117:
	s_or_b32 exec_lo, exec_lo, s2
	v_lshlrev_b32_e32 v59, 16, v11
	s_delay_alu instid0(VALU_DEP_2) | instskip(SKIP_1) | instid1(VALU_DEP_2)
	v_mov_b32_e32 v61, v62
	s_mov_b32 s2, exec_lo
	v_add_f32_e32 v59, v26, v59
	s_delay_alu instid0(VALU_DEP_1)
	v_mov_b32_e32 v63, v59
	v_cmpx_ngt_f32_e32 v59, v62
	s_cbranch_execz .LBB1_121
; %bb.118:
	s_mov_b32 s3, exec_lo
	v_cmpx_gt_f32_e32 v59, v60
; %bb.119:
	v_mov_b32_e32 v60, v59
; %bb.120:
	s_or_b32 exec_lo, exec_lo, s3
	s_delay_alu instid0(VALU_DEP_1)
	v_mov_b32_e32 v61, v60
	v_mov_b32_e32 v63, v62
.LBB1_121:
	s_or_b32 exec_lo, exec_lo, s2
	s_delay_alu instid0(VALU_DEP_1) | instskip(SKIP_1) | instid1(VALU_DEP_1)
	v_dual_mov_b32 v62, v63 :: v_dual_and_b32 v11, 0xffff0000, v11
	s_mov_b32 s2, exec_lo
	v_add_f32_e32 v11, v44, v11
	s_delay_alu instid0(VALU_DEP_1)
	v_mov_b32_e32 v64, v11
	v_cmpx_ngt_f32_e32 v11, v63
	s_cbranch_execz .LBB1_125
; %bb.122:
	s_mov_b32 s3, exec_lo
	v_cmpx_gt_f32_e32 v11, v61
; %bb.123:
	v_mov_b32_e32 v61, v11
; %bb.124:
	s_or_b32 exec_lo, exec_lo, s3
	s_delay_alu instid0(VALU_DEP_1)
	v_mov_b32_e32 v62, v61
	v_mov_b32_e32 v64, v63
.LBB1_125:
	s_or_b32 exec_lo, exec_lo, s2
	s_delay_alu instid0(VALU_DEP_1) | instskip(SKIP_1) | instid1(VALU_DEP_1)
	v_dual_mov_b32 v63, v64 :: v_dual_lshlrev_b32 v60, 16, v4
	s_mov_b32 s2, exec_lo
	v_add_f32_e32 v60, v27, v60
	s_delay_alu instid0(VALU_DEP_1)
	v_mov_b32_e32 v65, v60
	v_cmpx_ngt_f32_e32 v60, v64
	s_cbranch_execz .LBB1_129
; %bb.126:
	s_mov_b32 s3, exec_lo
	v_cmpx_gt_f32_e32 v60, v62
; %bb.127:
	v_mov_b32_e32 v62, v60
; %bb.128:
	s_or_b32 exec_lo, exec_lo, s3
	s_delay_alu instid0(VALU_DEP_1)
	v_mov_b32_e32 v63, v62
	v_mov_b32_e32 v65, v64
.LBB1_129:
	s_or_b32 exec_lo, exec_lo, s2
	v_and_b32_e32 v4, 0xffff0000, v4
	s_mov_b32 s2, exec_lo
	s_delay_alu instid0(VALU_DEP_1) | instskip(SKIP_1) | instid1(VALU_DEP_2)
	v_add_f32_e32 v61, v45, v4
	v_mov_b32_e32 v4, v65
	v_mov_b32_e32 v66, v61
	v_cmpx_ngt_f32_e32 v61, v65
	s_cbranch_execz .LBB1_133
; %bb.130:
	s_mov_b32 s3, exec_lo
	v_cmpx_gt_f32_e32 v61, v63
; %bb.131:
	v_mov_b32_e32 v63, v61
; %bb.132:
	s_or_b32 exec_lo, exec_lo, s3
	s_delay_alu instid0(VALU_DEP_1)
	v_mov_b32_e32 v4, v63
	v_mov_b32_e32 v66, v65
.LBB1_133:
	s_or_b32 exec_lo, exec_lo, s2
	v_lshlrev_b32_e32 v62, 16, v5
	s_delay_alu instid0(VALU_DEP_2) | instskip(SKIP_1) | instid1(VALU_DEP_2)
	v_mov_b32_e32 v64, v66
	s_mov_b32 s2, exec_lo
	v_add_f32_e32 v62, v20, v62
	s_delay_alu instid0(VALU_DEP_1)
	v_mov_b32_e32 v65, v62
	v_cmpx_ngt_f32_e32 v62, v66
	s_cbranch_execz .LBB1_137
; %bb.134:
	s_mov_b32 s3, exec_lo
	v_cmpx_gt_f32_e32 v62, v4
; %bb.135:
	v_mov_b32_e32 v4, v62
; %bb.136:
	s_or_b32 exec_lo, exec_lo, s3
	s_delay_alu instid0(VALU_DEP_1)
	v_dual_mov_b32 v64, v4 :: v_dual_mov_b32 v65, v66
.LBB1_137:
	s_or_b32 exec_lo, exec_lo, s2
	v_and_b32_e32 v4, 0xffff0000, v5
	s_mov_b32 s2, exec_lo
	s_delay_alu instid0(VALU_DEP_1) | instskip(NEXT) | instid1(VALU_DEP_1)
	v_dual_add_f32 v63, v46, v4 :: v_dual_mov_b32 v4, v65
	v_mov_b32_e32 v66, v63
	v_cmpx_ngt_f32_e32 v63, v65
	s_cbranch_execz .LBB1_141
; %bb.138:
	s_mov_b32 s3, exec_lo
	v_cmpx_gt_f32_e32 v63, v64
; %bb.139:
	v_mov_b32_e32 v64, v63
; %bb.140:
	s_or_b32 exec_lo, exec_lo, s3
	s_delay_alu instid0(VALU_DEP_1)
	v_mov_b32_e32 v4, v64
	v_mov_b32_e32 v66, v65
.LBB1_141:
	s_or_b32 exec_lo, exec_lo, s2
	v_lshlrev_b32_e32 v5, 16, v6
	s_mov_b32 s2, exec_lo
	s_delay_alu instid0(VALU_DEP_1) | instskip(NEXT) | instid1(VALU_DEP_1)
	v_dual_add_f32 v64, v21, v5 :: v_dual_mov_b32 v5, v66
	v_mov_b32_e32 v65, v64
	v_cmpx_ngt_f32_e32 v64, v66
	s_cbranch_execz .LBB1_145
; %bb.142:
	s_mov_b32 s3, exec_lo
	v_cmpx_gt_f32_e32 v64, v4
; %bb.143:
	v_mov_b32_e32 v4, v64
; %bb.144:
	s_or_b32 exec_lo, exec_lo, s3
	s_delay_alu instid0(VALU_DEP_1)
	v_mov_b32_e32 v5, v4
	v_mov_b32_e32 v65, v66
.LBB1_145:
	s_or_b32 exec_lo, exec_lo, s2
	v_and_b32_e32 v4, 0xffff0000, v6
	s_mov_b32 s2, exec_lo
	s_delay_alu instid0(VALU_DEP_1) | instskip(SKIP_1) | instid1(VALU_DEP_2)
	v_add_f32_e32 v6, v47, v4
	v_mov_b32_e32 v4, v65
	v_mov_b32_e32 v66, v6
	v_cmpx_ngt_f32_e32 v6, v65
	s_cbranch_execz .LBB1_149
; %bb.146:
	s_mov_b32 s3, exec_lo
	v_cmpx_gt_f32_e32 v6, v5
; %bb.147:
	v_mov_b32_e32 v5, v6
; %bb.148:
	s_or_b32 exec_lo, exec_lo, s3
	s_delay_alu instid0(VALU_DEP_1)
	v_mov_b32_e32 v4, v5
	v_mov_b32_e32 v66, v65
.LBB1_149:
	s_or_b32 exec_lo, exec_lo, s2
	v_lshlrev_b32_e32 v5, 16, v7
	s_mov_b32 s2, exec_lo
	s_delay_alu instid0(VALU_DEP_1) | instskip(SKIP_1) | instid1(VALU_DEP_2)
	v_add_f32_e32 v65, v22, v5
	v_mov_b32_e32 v5, v66
	v_mov_b32_e32 v67, v65
	v_cmpx_ngt_f32_e32 v65, v66
	s_cbranch_execz .LBB1_153
; %bb.150:
	s_mov_b32 s3, exec_lo
	v_cmpx_gt_f32_e32 v65, v4
; %bb.151:
	v_mov_b32_e32 v4, v65
; %bb.152:
	s_or_b32 exec_lo, exec_lo, s3
	s_delay_alu instid0(VALU_DEP_1)
	v_mov_b32_e32 v5, v4
	v_mov_b32_e32 v67, v66
.LBB1_153:
	s_or_b32 exec_lo, exec_lo, s2
	v_and_b32_e32 v4, 0xffff0000, v7
	s_mov_b32 s2, exec_lo
	s_delay_alu instid0(VALU_DEP_1) | instskip(NEXT) | instid1(VALU_DEP_1)
	v_dual_add_f32 v7, v48, v4 :: v_dual_mov_b32 v4, v67
	v_mov_b32_e32 v68, v7
	v_cmpx_ngt_f32_e32 v7, v67
	s_cbranch_execz .LBB1_157
; %bb.154:
	s_mov_b32 s3, exec_lo
	v_cmpx_gt_f32_e32 v7, v5
; %bb.155:
	v_mov_b32_e32 v5, v7
; %bb.156:
	s_or_b32 exec_lo, exec_lo, s3
	s_delay_alu instid0(VALU_DEP_1)
	v_mov_b32_e32 v4, v5
	v_mov_b32_e32 v68, v67
.LBB1_157:
	s_or_b32 exec_lo, exec_lo, s2
	v_lshlrev_b32_e32 v5, 16, v0
	s_mov_b32 s2, exec_lo
	s_delay_alu instid0(VALU_DEP_1) | instskip(NEXT) | instid1(VALU_DEP_1)
	v_dual_add_f32 v66, v23, v5 :: v_dual_mov_b32 v5, v68
	v_mov_b32_e32 v69, v66
	v_cmpx_ngt_f32_e32 v66, v68
	s_cbranch_execz .LBB1_161
; %bb.158:
	s_mov_b32 s3, exec_lo
	v_cmpx_gt_f32_e32 v66, v4
; %bb.159:
	v_mov_b32_e32 v4, v66
; %bb.160:
	s_or_b32 exec_lo, exec_lo, s3
	s_delay_alu instid0(VALU_DEP_1)
	v_mov_b32_e32 v5, v4
	v_mov_b32_e32 v69, v68
.LBB1_161:
	s_or_b32 exec_lo, exec_lo, s2
	v_and_b32_e32 v0, 0xffff0000, v0
	s_mov_b32 s2, exec_lo
	s_delay_alu instid0(VALU_DEP_1) | instskip(SKIP_1) | instid1(VALU_DEP_2)
	v_add_f32_e32 v67, v49, v0
	v_mov_b32_e32 v0, v69
	v_mov_b32_e32 v70, v67
	v_cmpx_ngt_f32_e32 v67, v69
	s_cbranch_execz .LBB1_165
; %bb.162:
	s_mov_b32 s3, exec_lo
	v_cmpx_gt_f32_e32 v67, v5
; %bb.163:
	v_mov_b32_e32 v5, v67
; %bb.164:
	s_or_b32 exec_lo, exec_lo, s3
	s_delay_alu instid0(VALU_DEP_1)
	v_mov_b32_e32 v0, v5
	v_mov_b32_e32 v70, v69
.LBB1_165:
	s_or_b32 exec_lo, exec_lo, s2
	v_lshlrev_b32_e32 v4, 16, v1
	s_mov_b32 s2, exec_lo
	s_delay_alu instid0(VALU_DEP_1) | instskip(NEXT) | instid1(VALU_DEP_1)
	v_add_f32_e32 v68, v16, v4
	v_dual_mov_b32 v4, v70 :: v_dual_mov_b32 v5, v68
	v_cmpx_ngt_f32_e32 v68, v70
	s_cbranch_execz .LBB1_169
; %bb.166:
	s_mov_b32 s3, exec_lo
	v_cmpx_gt_f32_e32 v68, v0
; %bb.167:
	v_mov_b32_e32 v0, v68
; %bb.168:
	s_or_b32 exec_lo, exec_lo, s3
	s_delay_alu instid0(VALU_DEP_1)
	v_dual_mov_b32 v4, v0 :: v_dual_mov_b32 v5, v70
.LBB1_169:
	s_or_b32 exec_lo, exec_lo, s2
	v_and_b32_e32 v0, 0xffff0000, v1
	s_mov_b32 s2, exec_lo
	s_delay_alu instid0(VALU_DEP_1) | instskip(NEXT) | instid1(VALU_DEP_1)
	v_dual_add_f32 v69, v50, v0 :: v_dual_mov_b32 v0, v5
	v_mov_b32_e32 v71, v69
	v_cmpx_ngt_f32_e32 v69, v5
	s_cbranch_execz .LBB1_173
; %bb.170:
	s_mov_b32 s3, exec_lo
	v_cmpx_gt_f32_e32 v69, v4
; %bb.171:
	v_mov_b32_e32 v4, v69
; %bb.172:
	s_or_b32 exec_lo, exec_lo, s3
	s_delay_alu instid0(VALU_DEP_1)
	v_dual_mov_b32 v0, v4 :: v_dual_mov_b32 v71, v5
.LBB1_173:
	s_or_b32 exec_lo, exec_lo, s2
	v_lshlrev_b32_e32 v1, 16, v2
	s_mov_b32 s2, exec_lo
	s_delay_alu instid0(VALU_DEP_1) | instskip(NEXT) | instid1(VALU_DEP_1)
	v_dual_add_f32 v70, v17, v1 :: v_dual_mov_b32 v1, v71
	v_mov_b32_e32 v4, v70
	v_cmpx_ngt_f32_e32 v70, v71
	s_cbranch_execz .LBB1_177
; %bb.174:
	s_mov_b32 s3, exec_lo
	v_cmpx_gt_f32_e32 v70, v0
; %bb.175:
	v_mov_b32_e32 v0, v70
; %bb.176:
	s_or_b32 exec_lo, exec_lo, s3
	s_delay_alu instid0(VALU_DEP_1)
	v_dual_mov_b32 v1, v0 :: v_dual_mov_b32 v4, v71
.LBB1_177:
	s_or_b32 exec_lo, exec_lo, s2
	v_and_b32_e32 v0, 0xffff0000, v2
	s_mov_b32 s2, exec_lo
	s_delay_alu instid0(VALU_DEP_1) | instskip(NEXT) | instid1(VALU_DEP_1)
	v_dual_add_f32 v71, v51, v0 :: v_dual_mov_b32 v0, v4
	v_mov_b32_e32 v2, v71
	v_cmpx_ngt_f32_e32 v71, v4
	s_cbranch_execz .LBB1_181
; %bb.178:
	s_mov_b32 s3, exec_lo
	v_cmpx_gt_f32_e32 v71, v1
; %bb.179:
	v_mov_b32_e32 v1, v71
; %bb.180:
	s_or_b32 exec_lo, exec_lo, s3
	s_delay_alu instid0(VALU_DEP_1)
	v_mov_b32_e32 v0, v1
	v_mov_b32_e32 v2, v4
.LBB1_181:
	s_or_b32 exec_lo, exec_lo, s2
	v_lshlrev_b32_e32 v1, 16, v3
	s_mov_b32 s2, exec_lo
	s_delay_alu instid0(VALU_DEP_1) | instskip(NEXT) | instid1(VALU_DEP_1)
	v_add_f32_e32 v72, v18, v1
	v_dual_mov_b32 v1, v2 :: v_dual_mov_b32 v4, v72
	v_cmpx_ngt_f32_e32 v72, v2
	s_cbranch_execz .LBB1_185
; %bb.182:
	s_mov_b32 s3, exec_lo
	v_cmpx_gt_f32_e32 v72, v0
; %bb.183:
	v_mov_b32_e32 v0, v72
; %bb.184:
	s_or_b32 exec_lo, exec_lo, s3
	s_delay_alu instid0(VALU_DEP_1)
	v_dual_mov_b32 v1, v0 :: v_dual_mov_b32 v4, v2
.LBB1_185:
	s_or_b32 exec_lo, exec_lo, s2
	v_and_b32_e32 v0, 0xffff0000, v3
	s_mov_b32 s2, exec_lo
	s_delay_alu instid0(VALU_DEP_1) | instskip(NEXT) | instid1(VALU_DEP_1)
	v_dual_add_f32 v73, v19, v0 :: v_dual_mov_b32 v0, v4
	v_mov_b32_e32 v2, v73
	v_cmpx_ngt_f32_e32 v73, v4
	s_cbranch_execz .LBB1_189
; %bb.186:
	s_mov_b32 s3, exec_lo
	v_cmpx_gt_f32_e32 v73, v1
; %bb.187:
	v_mov_b32_e32 v1, v73
; %bb.188:
	s_or_b32 exec_lo, exec_lo, s3
	s_delay_alu instid0(VALU_DEP_1)
	v_mov_b32_e32 v0, v1
	v_mov_b32_e32 v2, v4
.LBB1_189:
	s_or_b32 exec_lo, exec_lo, s2
	v_cmp_lt_i64_e64 s2, s[46:47], 8
	v_lshlrev_b32_e32 v74, 5, v34
	s_delay_alu instid0(VALU_DEP_2)
	s_and_b32 vcc_lo, exec_lo, s2
	s_cbranch_vccz .LBB1_192
; %bb.190:
	v_add_f32_e32 v0, v0, v2
	s_sub_u32 s4, 8, s46
	s_subb_u32 s5, 0, s47
	s_mov_b64 s[6:7], 0
.LBB1_191:                              ; =>This Inner Loop Header: Depth=1
	s_delay_alu instid0(VALU_DEP_1) | instskip(SKIP_1) | instid1(VALU_DEP_2)
	v_mov_b32_dpp v1, v0 quad_perm:[1,0,3,2] row_mask:0xf bank_mask:0xf
	v_mov_b32_dpp v2, v74 quad_perm:[1,0,3,2] row_mask:0xf bank_mask:0xf
	v_cmp_eq_f32_e32 vcc_lo, v0, v1
	s_delay_alu instid0(VALU_DEP_2) | instskip(SKIP_1) | instid1(VALU_DEP_2)
	v_cmp_lt_i32_e64 s2, v74, v2
	v_cmp_lt_f32_e64 s3, v0, v1
	s_and_b32 s2, s2, vcc_lo
	s_delay_alu instid0(VALU_DEP_1) | instid1(SALU_CYCLE_1)
	s_or_b32 vcc_lo, s3, s2
	v_dual_cndmask_b32 v1, v1, v0 :: v_dual_cndmask_b32 v2, v2, v74
	s_delay_alu instid0(VALU_DEP_1) | instskip(NEXT) | instid1(VALU_DEP_2)
	v_mov_b32_dpp v3, v1 quad_perm:[2,3,0,1] row_mask:0xf bank_mask:0xf
	v_mov_b32_dpp v4, v2 quad_perm:[2,3,0,1] row_mask:0xf bank_mask:0xf
	s_delay_alu instid0(VALU_DEP_2) | instskip(NEXT) | instid1(VALU_DEP_2)
	v_cmp_eq_f32_e32 vcc_lo, v1, v3
	v_cmp_lt_i32_e64 s2, v2, v4
	s_delay_alu instid0(VALU_DEP_1) | instskip(SKIP_2) | instid1(VALU_DEP_2)
	s_and_b32 vcc_lo, vcc_lo, s2
	v_cmp_lt_f32_e64 s2, v1, v3
	v_cndmask_b32_e32 v5, v3, v1, vcc_lo
	s_or_b32 vcc_lo, s2, vcc_lo
	s_add_u32 s6, s6, 1
	v_cndmask_b32_e32 v2, v4, v2, vcc_lo
	s_delay_alu instid0(VALU_DEP_2) | instskip(SKIP_1) | instid1(SALU_CYCLE_1)
	v_cndmask_b32_e64 v1, v5, v1, s2
	s_addc_u32 s7, s7, 0
	v_cmp_le_i64_e64 s2, s[4:5], s[6:7]
	s_delay_alu instid0(VALU_DEP_3) | instskip(NEXT) | instid1(VALU_DEP_3)
	v_mov_b32_dpp v3, v2 row_half_mirror row_mask:0xf bank_mask:0xf
	v_mov_b32_dpp v4, v1 row_half_mirror row_mask:0xf bank_mask:0xf
	s_delay_alu instid0(VALU_DEP_2) | instskip(NEXT) | instid1(VALU_DEP_2)
	v_min_i32_e32 v5, v2, v3
	v_cmp_eq_f32_e32 vcc_lo, v1, v4
	s_delay_alu instid0(VALU_DEP_2) | instskip(SKIP_1) | instid1(VALU_DEP_2)
	v_cndmask_b32_e32 v3, v3, v5, vcc_lo
	v_cmp_lt_f32_e32 vcc_lo, v1, v4
	v_cndmask_b32_e32 v1, v3, v2, vcc_lo
	s_delay_alu instid0(VALU_DEP_1) | instskip(NEXT) | instid1(VALU_DEP_1)
	v_ashrrev_i32_e32 v2, 31, v1
	v_lshrrev_b32_e32 v2, 27, v2
	s_delay_alu instid0(VALU_DEP_1) | instskip(NEXT) | instid1(VALU_DEP_1)
	v_add_nc_u32_e32 v1, v1, v2
	v_ashrrev_i32_e32 v1, 5, v1
	s_delay_alu instid0(VALU_DEP_1)
	v_cmp_eq_u32_e32 vcc_lo, v34, v1
	v_cndmask_b32_e64 v12, v12, 0x7f7fffff, vcc_lo
	v_cndmask_b32_e64 v0, v0, 0x7f7fffff, vcc_lo
	s_and_b32 vcc_lo, exec_lo, s2
	s_cbranch_vccz .LBB1_191
.LBB1_192:
	s_sub_u32 s36, s48, s50
	s_subb_u32 s37, s49, s51
	s_mov_b64 s[2:3], src_shared_base
	s_cmp_lg_u32 0, -1
	v_lshlrev_b32_e32 v4, 2, v42
	s_cselect_b32 s2, s3, 0
	s_cselect_b32 s3, 0, 0
	s_load_b32 s35, s[0:1], 0x48
	s_add_u32 s4, s3, 0xff
	s_addc_u32 s3, s2, 0
	s_and_b32 s2, s4, 0xffffff00
	s_delay_alu instid0(SALU_CYCLE_1) | instskip(SKIP_1) | instid1(VALU_DEP_1)
	v_mad_u64_u32 v[0:1], null, v4, s48, s[2:3]
	v_cmp_lt_i64_e64 s2, s[36:37], 1
	s_and_b32 vcc_lo, exec_lo, s2
	s_delay_alu instid0(VALU_DEP_2) | instskip(SKIP_1) | instid1(VALU_DEP_2)
	v_mad_u64_u32 v[2:3], null, v4, s49, v[1:2]
	v_cmp_eq_u32_e64 s2, 0, v34
	v_mov_b32_e32 v1, v2
	s_cbranch_vccnz .LBB1_203
; %bb.193:
	s_waitcnt lgkmcnt(0)
	v_mad_u64_u32 v[2:3], null, s35, v32, 0
	s_ashr_i32 s3, s35, 31
	v_mul_u32_u24_e32 v75, 32, v34
	s_mov_b64 s[38:39], 0
	v_mov_b32_e32 v42, 0
	s_delay_alu instid0(VALU_DEP_3) | instskip(NEXT) | instid1(VALU_DEP_1)
	v_mad_u64_u32 v[4:5], null, s3, v32, v[3:4]
	v_mov_b32_e32 v3, v4
	v_dual_mov_b32 v5, v1 :: v_dual_mov_b32 v4, v0
	s_delay_alu instid0(VALU_DEP_2) | instskip(NEXT) | instid1(VALU_DEP_1)
	v_lshlrev_b64 v[2:3], 2, v[2:3]
	v_add_co_u32 v2, vcc_lo, s42, v2
	s_delay_alu instid0(VALU_DEP_2)
	v_add_co_ci_u32_e32 v3, vcc_lo, s43, v3, vcc_lo
	s_branch .LBB1_195
.LBB1_194:                              ;   in Loop: Header=BB1_195 Depth=1
	s_or_b32 exec_lo, exec_lo, s3
	s_add_u32 s38, s38, 1
	s_addc_u32 s39, s39, 0
	v_add_co_u32 v2, vcc_lo, v2, 4
	v_cmp_le_i64_e64 s3, s[36:37], s[38:39]
	v_add_co_ci_u32_e32 v3, vcc_lo, 0, v3, vcc_lo
	v_add_co_u32 v4, vcc_lo, v4, 4
	v_add_co_ci_u32_e32 v5, vcc_lo, 0, v5, vcc_lo
	s_delay_alu instid0(VALU_DEP_4)
	s_and_b32 vcc_lo, exec_lo, s3
	s_cbranch_vccnz .LBB1_204
.LBB1_195:                              ; =>This Inner Loop Header: Depth=1
	v_dual_mov_b32 v76, 0xff7fffff :: v_dual_mov_b32 v77, v74
	s_mov_b32 s3, exec_lo
	v_cmpx_neq_f32_e32 0x7f7fffff, v12
	s_cbranch_execz .LBB1_197
; %bb.196:                              ;   in Loop: Header=BB1_195 Depth=1
	v_cmp_gt_f32_e32 vcc_lo, v52, v12
	v_cndmask_b32_e32 v76, v12, v52, vcc_lo
	v_cndmask_b32_e64 v77, 0, 1, vcc_lo
	s_delay_alu instid0(VALU_DEP_2) | instskip(SKIP_1) | instid1(VALU_DEP_3)
	v_cmp_gt_f32_e32 vcc_lo, v53, v76
	v_cndmask_b32_e32 v76, v76, v53, vcc_lo
	v_cndmask_b32_e64 v77, v77, 2, vcc_lo
	s_delay_alu instid0(VALU_DEP_2) | instskip(SKIP_1) | instid1(VALU_DEP_3)
	v_cmp_gt_f32_e32 vcc_lo, v13, v76
	v_cndmask_b32_e32 v76, v76, v13, vcc_lo
	v_cndmask_b32_e64 v77, v77, 3, vcc_lo
	s_delay_alu instid0(VALU_DEP_2) | instskip(SKIP_1) | instid1(VALU_DEP_3)
	v_cmp_gt_f32_e32 vcc_lo, v54, v76
	v_cndmask_b32_e32 v76, v76, v54, vcc_lo
	v_cndmask_b32_e64 v77, v77, 4, vcc_lo
	s_delay_alu instid0(VALU_DEP_2) | instskip(SKIP_1) | instid1(VALU_DEP_3)
	v_cmp_gt_f32_e32 vcc_lo, v14, v76
	v_cndmask_b32_e32 v76, v76, v14, vcc_lo
	v_cndmask_b32_e64 v77, v77, 5, vcc_lo
	s_delay_alu instid0(VALU_DEP_2) | instskip(SKIP_1) | instid1(VALU_DEP_3)
	v_cmp_gt_f32_e32 vcc_lo, v55, v76
	v_cndmask_b32_e32 v76, v76, v55, vcc_lo
	v_cndmask_b32_e64 v77, v77, 6, vcc_lo
	s_delay_alu instid0(VALU_DEP_2) | instskip(SKIP_1) | instid1(VALU_DEP_3)
	v_cmp_gt_f32_e32 vcc_lo, v15, v76
	v_cndmask_b32_e32 v76, v76, v15, vcc_lo
	v_cndmask_b32_e64 v77, v77, 7, vcc_lo
	s_delay_alu instid0(VALU_DEP_2) | instskip(SKIP_1) | instid1(VALU_DEP_3)
	v_cmp_gt_f32_e32 vcc_lo, v56, v76
	v_cndmask_b32_e32 v76, v76, v56, vcc_lo
	v_cndmask_b32_e64 v77, v77, 8, vcc_lo
	s_delay_alu instid0(VALU_DEP_2) | instskip(SKIP_1) | instid1(VALU_DEP_3)
	v_cmp_gt_f32_e32 vcc_lo, v8, v76
	v_cndmask_b32_e32 v76, v76, v8, vcc_lo
	v_cndmask_b32_e64 v77, v77, 9, vcc_lo
	s_delay_alu instid0(VALU_DEP_2) | instskip(SKIP_1) | instid1(VALU_DEP_3)
	v_cmp_gt_f32_e32 vcc_lo, v57, v76
	v_cndmask_b32_e32 v76, v76, v57, vcc_lo
	v_cndmask_b32_e64 v77, v77, 10, vcc_lo
	s_delay_alu instid0(VALU_DEP_2) | instskip(SKIP_1) | instid1(VALU_DEP_3)
	v_cmp_gt_f32_e32 vcc_lo, v9, v76
	v_cndmask_b32_e32 v76, v76, v9, vcc_lo
	v_cndmask_b32_e64 v77, v77, 11, vcc_lo
	s_delay_alu instid0(VALU_DEP_2) | instskip(SKIP_1) | instid1(VALU_DEP_3)
	v_cmp_gt_f32_e32 vcc_lo, v58, v76
	v_cndmask_b32_e32 v76, v76, v58, vcc_lo
	v_cndmask_b32_e64 v77, v77, 12, vcc_lo
	s_delay_alu instid0(VALU_DEP_2) | instskip(SKIP_1) | instid1(VALU_DEP_3)
	v_cmp_gt_f32_e32 vcc_lo, v10, v76
	v_cndmask_b32_e32 v76, v76, v10, vcc_lo
	v_cndmask_b32_e64 v77, v77, 13, vcc_lo
	s_delay_alu instid0(VALU_DEP_2) | instskip(SKIP_1) | instid1(VALU_DEP_3)
	v_cmp_gt_f32_e32 vcc_lo, v59, v76
	v_cndmask_b32_e32 v76, v76, v59, vcc_lo
	v_cndmask_b32_e64 v77, v77, 14, vcc_lo
	s_delay_alu instid0(VALU_DEP_2) | instskip(SKIP_1) | instid1(VALU_DEP_3)
	v_cmp_gt_f32_e32 vcc_lo, v11, v76
	v_cndmask_b32_e32 v76, v76, v11, vcc_lo
	v_cndmask_b32_e64 v77, v77, 15, vcc_lo
	s_delay_alu instid0(VALU_DEP_2) | instskip(SKIP_1) | instid1(VALU_DEP_3)
	v_cmp_gt_f32_e32 vcc_lo, v60, v76
	v_cndmask_b32_e32 v76, v76, v60, vcc_lo
	v_cndmask_b32_e64 v77, v77, 16, vcc_lo
	s_delay_alu instid0(VALU_DEP_2) | instskip(SKIP_1) | instid1(VALU_DEP_3)
	v_cmp_gt_f32_e32 vcc_lo, v61, v76
	v_cndmask_b32_e32 v76, v76, v61, vcc_lo
	v_cndmask_b32_e64 v77, v77, 17, vcc_lo
	s_delay_alu instid0(VALU_DEP_2) | instskip(SKIP_1) | instid1(VALU_DEP_3)
	v_cmp_gt_f32_e32 vcc_lo, v62, v76
	v_cndmask_b32_e32 v76, v76, v62, vcc_lo
	v_cndmask_b32_e64 v77, v77, 18, vcc_lo
	s_delay_alu instid0(VALU_DEP_2) | instskip(SKIP_1) | instid1(VALU_DEP_3)
	v_cmp_gt_f32_e32 vcc_lo, v63, v76
	v_cndmask_b32_e32 v76, v76, v63, vcc_lo
	v_cndmask_b32_e64 v77, v77, 19, vcc_lo
	s_delay_alu instid0(VALU_DEP_2) | instskip(SKIP_1) | instid1(VALU_DEP_3)
	v_cmp_gt_f32_e32 vcc_lo, v64, v76
	v_cndmask_b32_e32 v76, v76, v64, vcc_lo
	v_cndmask_b32_e64 v77, v77, 20, vcc_lo
	s_delay_alu instid0(VALU_DEP_2) | instskip(SKIP_1) | instid1(VALU_DEP_3)
	v_cmp_gt_f32_e32 vcc_lo, v6, v76
	v_cndmask_b32_e32 v76, v76, v6, vcc_lo
	v_cndmask_b32_e64 v77, v77, 21, vcc_lo
	s_delay_alu instid0(VALU_DEP_2) | instskip(SKIP_1) | instid1(VALU_DEP_3)
	v_cmp_gt_f32_e32 vcc_lo, v65, v76
	v_cndmask_b32_e32 v76, v76, v65, vcc_lo
	v_cndmask_b32_e64 v77, v77, 22, vcc_lo
	s_delay_alu instid0(VALU_DEP_2) | instskip(SKIP_1) | instid1(VALU_DEP_3)
	v_cmp_gt_f32_e32 vcc_lo, v7, v76
	v_cndmask_b32_e32 v76, v76, v7, vcc_lo
	v_cndmask_b32_e64 v77, v77, 23, vcc_lo
	s_delay_alu instid0(VALU_DEP_2) | instskip(SKIP_1) | instid1(VALU_DEP_3)
	v_cmp_gt_f32_e32 vcc_lo, v66, v76
	v_cndmask_b32_e32 v76, v76, v66, vcc_lo
	v_cndmask_b32_e64 v77, v77, 24, vcc_lo
	s_delay_alu instid0(VALU_DEP_2) | instskip(SKIP_1) | instid1(VALU_DEP_3)
	v_cmp_gt_f32_e32 vcc_lo, v67, v76
	v_cndmask_b32_e32 v76, v76, v67, vcc_lo
	v_cndmask_b32_e64 v77, v77, 25, vcc_lo
	s_delay_alu instid0(VALU_DEP_2) | instskip(SKIP_1) | instid1(VALU_DEP_3)
	v_cmp_gt_f32_e32 vcc_lo, v68, v76
	v_cndmask_b32_e32 v76, v76, v68, vcc_lo
	v_cndmask_b32_e64 v77, v77, 26, vcc_lo
	s_delay_alu instid0(VALU_DEP_2) | instskip(SKIP_1) | instid1(VALU_DEP_3)
	v_cmp_gt_f32_e32 vcc_lo, v69, v76
	v_cndmask_b32_e32 v76, v76, v69, vcc_lo
	v_cndmask_b32_e64 v77, v77, 27, vcc_lo
	s_delay_alu instid0(VALU_DEP_2) | instskip(SKIP_1) | instid1(VALU_DEP_3)
	v_cmp_gt_f32_e32 vcc_lo, v70, v76
	v_cndmask_b32_e32 v76, v76, v70, vcc_lo
	v_cndmask_b32_e64 v77, v77, 28, vcc_lo
	s_delay_alu instid0(VALU_DEP_2) | instskip(SKIP_1) | instid1(VALU_DEP_3)
	v_cmp_gt_f32_e32 vcc_lo, v71, v76
	v_cndmask_b32_e32 v76, v76, v71, vcc_lo
	v_cndmask_b32_e64 v77, v77, 29, vcc_lo
	s_delay_alu instid0(VALU_DEP_2) | instskip(SKIP_1) | instid1(VALU_DEP_3)
	v_cmp_gt_f32_e32 vcc_lo, v72, v76
	v_cndmask_b32_e32 v76, v76, v72, vcc_lo
	v_cndmask_b32_e64 v77, v77, 30, vcc_lo
	s_delay_alu instid0(VALU_DEP_2) | instskip(NEXT) | instid1(VALU_DEP_2)
	v_cmp_gt_f32_e32 vcc_lo, v73, v76
	v_cndmask_b32_e64 v77, v77, 31, vcc_lo
	v_cndmask_b32_e32 v76, v76, v73, vcc_lo
	s_delay_alu instid0(VALU_DEP_2)
	v_or_b32_e32 v77, v77, v74
.LBB1_197:                              ;   in Loop: Header=BB1_195 Depth=1
	s_or_b32 exec_lo, exec_lo, s3
	s_delay_alu instid0(VALU_DEP_2) | instskip(NEXT) | instid1(VALU_DEP_2)
	v_mov_b32_dpp v78, v76 quad_perm:[1,0,3,2] row_mask:0xf bank_mask:0xf
	v_mov_b32_dpp v79, v77 quad_perm:[1,0,3,2] row_mask:0xf bank_mask:0xf
	s_mov_b32 s44, exec_lo
	s_delay_alu instid0(VALU_DEP_2) | instskip(NEXT) | instid1(VALU_DEP_2)
	v_cmp_eq_f32_e32 vcc_lo, v76, v78
	v_cmp_lt_i32_e64 s3, v77, v79
	v_cmp_gt_f32_e64 s4, v76, v78
	s_delay_alu instid0(VALU_DEP_2)
	s_and_b32 s3, vcc_lo, s3
	s_delay_alu instid0(VALU_DEP_1) | instid1(SALU_CYCLE_1)
	s_or_b32 vcc_lo, s4, s3
	v_dual_cndmask_b32 v76, v78, v76 :: v_dual_cndmask_b32 v77, v79, v77
	s_delay_alu instid0(VALU_DEP_1) | instskip(NEXT) | instid1(VALU_DEP_2)
	v_mov_b32_dpp v78, v76 quad_perm:[2,3,0,1] row_mask:0xf bank_mask:0xf
	v_mov_b32_dpp v79, v77 quad_perm:[2,3,0,1] row_mask:0xf bank_mask:0xf
	s_delay_alu instid0(VALU_DEP_2) | instskip(NEXT) | instid1(VALU_DEP_2)
	v_cmp_eq_f32_e32 vcc_lo, v76, v78
	v_cmp_lt_i32_e64 s3, v77, v79
	s_delay_alu instid0(VALU_DEP_1) | instskip(SKIP_2) | instid1(VALU_DEP_2)
	s_and_b32 vcc_lo, vcc_lo, s3
	v_cmp_gt_f32_e64 s3, v76, v78
	v_cndmask_b32_e32 v80, v78, v76, vcc_lo
	s_or_b32 vcc_lo, s3, vcc_lo
	v_cndmask_b32_e32 v77, v79, v77, vcc_lo
	s_delay_alu instid0(VALU_DEP_2) | instskip(NEXT) | instid1(VALU_DEP_2)
	v_cndmask_b32_e64 v76, v80, v76, s3
	v_mov_b32_dpp v78, v77 row_half_mirror row_mask:0xf bank_mask:0xf
	s_delay_alu instid0(VALU_DEP_2) | instskip(NEXT) | instid1(VALU_DEP_2)
	v_mov_b32_dpp v79, v76 row_half_mirror row_mask:0xf bank_mask:0xf
	v_min_i32_e32 v80, v77, v78
	s_delay_alu instid0(VALU_DEP_2) | instskip(NEXT) | instid1(VALU_DEP_2)
	v_cmp_eq_f32_e32 vcc_lo, v76, v79
	v_cndmask_b32_e32 v78, v78, v80, vcc_lo
	v_cmp_gt_f32_e32 vcc_lo, v76, v79
	s_delay_alu instid0(VALU_DEP_2) | instskip(NEXT) | instid1(VALU_DEP_1)
	v_cndmask_b32_e32 v76, v78, v77, vcc_lo
	v_ashrrev_i32_e32 v77, 31, v76
	s_delay_alu instid0(VALU_DEP_1) | instskip(NEXT) | instid1(VALU_DEP_1)
	v_lshrrev_b32_e32 v77, 27, v77
	v_add_nc_u32_e32 v77, v76, v77
	s_delay_alu instid0(VALU_DEP_1) | instskip(NEXT) | instid1(VALU_DEP_1)
	v_ashrrev_i32_e32 v77, 5, v77
	v_cmpx_eq_u32_e64 v34, v77
	s_cbranch_execz .LBB1_201
; %bb.198:                              ;   in Loop: Header=BB1_195 Depth=1
	v_sub_nc_u32_e32 v77, v76, v75
	s_mov_b32 s45, exec_lo
	s_delay_alu instid0(VALU_DEP_1)
	v_cmp_eq_u32_e32 vcc_lo, 1, v77
	v_cmp_eq_u32_e64 s3, 2, v77
	v_cmp_eq_u32_e64 s4, 3, v77
	;; [unrolled: 1-line block ×30, first 2 shown]
	v_cmpx_gt_u32_e32 32, v77
	s_cbranch_execz .LBB1_200
; %bb.199:                              ;   in Loop: Header=BB1_195 Depth=1
	v_cndmask_b32_e32 v78, v35, v36, vcc_lo
	s_delay_alu instid0(VALU_DEP_1) | instskip(NEXT) | instid1(VALU_DEP_1)
	v_cndmask_b32_e64 v78, v78, v28, s3
	v_cndmask_b32_e64 v78, v78, v37, s4
	s_delay_alu instid0(VALU_DEP_1) | instskip(NEXT) | instid1(VALU_DEP_1)
	v_cndmask_b32_e64 v78, v78, v29, s5
	v_cndmask_b32_e64 v78, v78, v38, s6
	;; [unrolled: 3-line block ×15, first 2 shown]
	flat_store_b32 v[4:5], v78
.LBB1_200:                              ;   in Loop: Header=BB1_195 Depth=1
	s_or_b32 exec_lo, exec_lo, s45
	v_cmp_ne_u32_e64 s34, 0, v77
	v_cndmask_b32_e64 v52, v52, 0xff7fffff, vcc_lo
	v_cndmask_b32_e64 v53, v53, 0xff7fffff, s3
	v_cndmask_b32_e64 v13, v13, 0xff7fffff, s4
	;; [unrolled: 1-line block ×31, first 2 shown]
	global_store_b32 v[2:3], v76, off
.LBB1_201:                              ;   in Loop: Header=BB1_195 Depth=1
	s_or_b32 exec_lo, exec_lo, s44
	s_waitcnt lgkmcnt(0)
	s_waitcnt_vscnt null, 0x0
	s_barrier
	buffer_gl0_inv
	s_and_saveexec_b32 s3, s2
	s_cbranch_execz .LBB1_194
; %bb.202:                              ;   in Loop: Header=BB1_195 Depth=1
	flat_load_b32 v76, v[4:5]
	s_waitcnt vmcnt(0) lgkmcnt(0)
	v_add_f32_e32 v42, v42, v76
	s_branch .LBB1_194
.LBB1_203:
	v_mov_b32_e32 v42, 0
.LBB1_204:
	v_cmp_gt_i64_e64 s3, s[50:51], 0
	v_cmp_eq_u32_e64 s2, 0, v34
	s_delay_alu instid0(VALU_DEP_1) | instskip(NEXT) | instid1(SALU_CYCLE_1)
	s_and_b32 s4, s2, s3
	s_and_saveexec_b32 s3, s4
	s_cbranch_execz .LBB1_210
; %bb.205:
	v_dual_mov_b32 v2, v32 :: v_dual_mov_b32 v3, v33
	s_mov_b32 s4, exec_lo
	v_cmpx_le_u64_e64 s[50:51], v[32:33]
	s_cbranch_execz .LBB1_207
; %bb.206:
	v_cvt_f32_u32_e32 v2, s50
	s_sub_i32 s5, 0, s50
	s_delay_alu instid0(VALU_DEP_1) | instskip(SKIP_2) | instid1(VALU_DEP_1)
	v_rcp_iflag_f32_e32 v2, v2
	s_waitcnt_depctr 0xfff
	v_mul_f32_e32 v2, 0x4f7ffffe, v2
	v_cvt_u32_f32_e32 v2, v2
	s_delay_alu instid0(VALU_DEP_1) | instskip(NEXT) | instid1(VALU_DEP_1)
	v_mul_lo_u32 v3, s5, v2
	v_mul_hi_u32 v3, v2, v3
	s_delay_alu instid0(VALU_DEP_1) | instskip(NEXT) | instid1(VALU_DEP_1)
	v_add_nc_u32_e32 v2, v2, v3
	v_mul_hi_u32 v2, v32, v2
	s_delay_alu instid0(VALU_DEP_1) | instskip(NEXT) | instid1(VALU_DEP_1)
	v_mul_lo_u32 v2, v2, s50
	v_sub_nc_u32_e32 v2, v32, v2
	s_delay_alu instid0(VALU_DEP_1) | instskip(SKIP_1) | instid1(VALU_DEP_2)
	v_subrev_nc_u32_e32 v3, s50, v2
	v_cmp_le_u32_e32 vcc_lo, s50, v2
	v_cndmask_b32_e32 v2, v2, v3, vcc_lo
	s_delay_alu instid0(VALU_DEP_1) | instskip(SKIP_1) | instid1(VALU_DEP_2)
	v_subrev_nc_u32_e32 v3, s50, v2
	v_cmp_le_u32_e32 vcc_lo, s50, v2
	v_dual_cndmask_b32 v2, v2, v3 :: v_dual_mov_b32 v3, 0
.LBB1_207:
	s_or_b32 exec_lo, exec_lo, s4
	v_cvt_f64_f32_e32 v[4:5], v42
	s_load_b64 s[0:1], s[0:1], 0x40
	s_waitcnt lgkmcnt(0)
	s_delay_alu instid0(VALU_DEP_1) | instskip(SKIP_1) | instid1(VALU_DEP_2)
	v_div_scale_f64 v[6:7], null, s[0:1], s[0:1], v[4:5]
	v_div_scale_f64 v[12:13], vcc_lo, v[4:5], s[0:1], v[4:5]
	v_rcp_f64_e32 v[8:9], v[6:7]
	s_waitcnt_depctr 0xfff
	v_fma_f64 v[10:11], -v[6:7], v[8:9], 1.0
	s_delay_alu instid0(VALU_DEP_1) | instskip(NEXT) | instid1(VALU_DEP_1)
	v_fma_f64 v[8:9], v[8:9], v[10:11], v[8:9]
	v_fma_f64 v[10:11], -v[6:7], v[8:9], 1.0
	s_delay_alu instid0(VALU_DEP_1) | instskip(NEXT) | instid1(VALU_DEP_1)
	v_fma_f64 v[8:9], v[8:9], v[10:11], v[8:9]
	v_mul_f64 v[10:11], v[12:13], v[8:9]
	s_delay_alu instid0(VALU_DEP_1) | instskip(NEXT) | instid1(VALU_DEP_1)
	v_fma_f64 v[6:7], -v[6:7], v[10:11], v[12:13]
	v_div_fmas_f64 v[6:7], v[6:7], v[8:9], v[10:11]
	v_add_nc_u32_e32 v11, 0x100, v2
	s_delay_alu instid0(VALU_DEP_2) | instskip(SKIP_2) | instid1(VALU_DEP_2)
	v_div_fixup_f64 v[4:5], v[6:7], s[0:1], v[4:5]
	v_mad_u64_u32 v[6:7], null, s35, v32, s[36:37]
	s_ashr_i32 s0, s35, 31
	v_cvt_f32_f64_e32 v8, v[4:5]
	s_delay_alu instid0(VALU_DEP_2) | instskip(NEXT) | instid1(VALU_DEP_1)
	v_mov_b32_e32 v4, v7
	v_mad_u64_u32 v[9:10], null, s0, v32, v[4:5]
	v_cmp_lt_u64_e64 s0, s[50:51], 2
	s_delay_alu instid0(VALU_DEP_2) | instskip(NEXT) | instid1(VALU_DEP_1)
	v_mov_b32_e32 v7, v9
	v_lshlrev_b64 v[4:5], 2, v[6:7]
	s_delay_alu instid0(VALU_DEP_1) | instskip(NEXT) | instid1(VALU_DEP_2)
	v_add_co_u32 v6, vcc_lo, s42, v4
	v_add_co_ci_u32_e32 v7, vcc_lo, s43, v5, vcc_lo
	v_add_co_u32 v9, vcc_lo, s40, v4
	v_add_co_ci_u32_e32 v10, vcc_lo, s41, v5, vcc_lo
	s_and_b32 vcc_lo, exec_lo, s0
	global_store_b32 v[6:7], v11, off
	global_store_b32 v[9:10], v8, off
	s_cbranch_vccnz .LBB1_210
; %bb.208:
	v_add_co_u32 v6, vcc_lo, v4, 4
	v_add_co_ci_u32_e32 v7, vcc_lo, 0, v5, vcc_lo
	s_mov_b64 s[0:1], 1
	s_delay_alu instid0(VALU_DEP_2) | instskip(NEXT) | instid1(VALU_DEP_2)
	v_add_co_u32 v4, vcc_lo, s40, v6
	v_add_co_ci_u32_e32 v5, vcc_lo, s41, v7, vcc_lo
	v_add_co_u32 v6, vcc_lo, s42, v6
	v_add_co_ci_u32_e32 v7, vcc_lo, s43, v7, vcc_lo
	.p2align	6
.LBB1_209:                              ; =>This Inner Loop Header: Depth=1
	s_delay_alu instid0(VALU_DEP_2)
	v_add_co_u32 v9, vcc_lo, v2, 1
	v_add_co_ci_u32_e32 v10, vcc_lo, 0, v3, vcc_lo
	v_add_nc_u32_e32 v2, 0x101, v2
	s_add_u32 s0, s0, 1
	global_store_b32 v[4:5], v8, off
	v_add_co_u32 v4, vcc_lo, v4, 4
	s_addc_u32 s1, s1, 0
	v_add_co_ci_u32_e32 v5, vcc_lo, 0, v5, vcc_lo
	v_cmp_lt_u64_e64 s4, s[0:1], s[50:51]
	global_store_b32 v[6:7], v2, off
	v_add_co_u32 v6, vcc_lo, v6, 4
	v_dual_mov_b32 v2, v9 :: v_dual_mov_b32 v3, v10
	v_add_co_ci_u32_e32 v7, vcc_lo, 0, v7, vcc_lo
	s_and_b32 vcc_lo, exec_lo, s4
	s_cbranch_vccnz .LBB1_209
.LBB1_210:
	s_or_b32 exec_lo, exec_lo, s3
	v_cmp_gt_i64_e64 s3, s[48:49], 0
	s_mov_b64 s[0:1], 0
	s_waitcnt lgkmcnt(0)
	s_waitcnt_vscnt null, 0x0
	s_barrier
	buffer_gl0_inv
	s_and_b32 s2, s2, s3
	s_delay_alu instid0(SALU_CYCLE_1)
	s_and_b32 exec_lo, exec_lo, s2
	s_cbranch_execz .LBB1_217
; %bb.211:
	v_mad_u64_u32 v[2:3], null, s35, v32, 0
	s_ashr_i32 s2, s35, 31
	s_delay_alu instid0(VALU_DEP_1) | instid1(SALU_CYCLE_1)
	v_mad_u64_u32 v[4:5], null, s2, v32, v[3:4]
	v_cmp_lt_u64_e64 s2, s[48:49], 8
	s_delay_alu instid0(VALU_DEP_2) | instskip(NEXT) | instid1(VALU_DEP_1)
	v_mov_b32_e32 v3, v4
	v_lshlrev_b64 v[2:3], 2, v[2:3]
	s_delay_alu instid0(VALU_DEP_1) | instskip(NEXT) | instid1(VALU_DEP_2)
	v_add_co_u32 v2, vcc_lo, s40, v2
	v_add_co_ci_u32_e32 v3, vcc_lo, s41, v3, vcc_lo
	s_and_b32 vcc_lo, exec_lo, s2
	s_cbranch_vccnz .LBB1_214
; %bb.212:
	s_and_b32 s1, s49, 0x7fffffff
	s_and_b32 s0, s48, -8
	s_mov_b64 s[2:3], 0
	s_mov_b64 s[4:5], s[0:1]
.LBB1_213:                              ; =>This Inner Loop Header: Depth=1
	v_add_co_u32 v4, vcc_lo, v0, s2
	v_add_co_ci_u32_e32 v5, vcc_lo, s3, v1, vcc_lo
	flat_load_b32 v8, v[4:5]
	s_waitcnt vmcnt(0) lgkmcnt(0)
	v_div_scale_f32 v6, null, v42, v42, v8
	v_div_scale_f32 v10, vcc_lo, v8, v42, v8
	s_delay_alu instid0(VALU_DEP_2) | instskip(SKIP_2) | instid1(VALU_DEP_1)
	v_rcp_f32_e32 v7, v6
	s_waitcnt_depctr 0xfff
	v_fma_f32 v9, -v6, v7, 1.0
	v_fmac_f32_e32 v7, v9, v7
	s_delay_alu instid0(VALU_DEP_1) | instskip(NEXT) | instid1(VALU_DEP_1)
	v_mul_f32_e32 v9, v10, v7
	v_fma_f32 v11, -v6, v9, v10
	s_delay_alu instid0(VALU_DEP_1) | instskip(NEXT) | instid1(VALU_DEP_1)
	v_fmac_f32_e32 v9, v11, v7
	v_fma_f32 v6, -v6, v9, v10
	s_delay_alu instid0(VALU_DEP_1) | instskip(SKIP_2) | instid1(VALU_DEP_3)
	v_div_fmas_f32 v9, v6, v7, v9
	v_add_co_u32 v6, vcc_lo, v2, s2
	v_add_co_ci_u32_e32 v7, vcc_lo, s3, v3, vcc_lo
	v_div_fixup_f32 v8, v9, v42, v8
	s_add_u32 s2, s2, 32
	s_addc_u32 s3, s3, 0
	s_add_u32 s4, s4, -8
	s_addc_u32 s5, s5, -1
	global_store_b32 v[6:7], v8, off
	flat_load_b32 v8, v[4:5] offset:4
	s_cmp_lg_u64 s[4:5], 0
	s_waitcnt vmcnt(0) lgkmcnt(0)
	v_div_scale_f32 v9, null, v42, v42, v8
	v_div_scale_f32 v12, vcc_lo, v8, v42, v8
	s_delay_alu instid0(VALU_DEP_2) | instskip(SKIP_2) | instid1(VALU_DEP_1)
	v_rcp_f32_e32 v10, v9
	s_waitcnt_depctr 0xfff
	v_fma_f32 v11, -v9, v10, 1.0
	v_fmac_f32_e32 v10, v11, v10
	s_delay_alu instid0(VALU_DEP_1) | instskip(NEXT) | instid1(VALU_DEP_1)
	v_mul_f32_e32 v11, v12, v10
	v_fma_f32 v13, -v9, v11, v12
	s_delay_alu instid0(VALU_DEP_1) | instskip(NEXT) | instid1(VALU_DEP_1)
	v_fmac_f32_e32 v11, v13, v10
	v_fma_f32 v9, -v9, v11, v12
	s_delay_alu instid0(VALU_DEP_1) | instskip(NEXT) | instid1(VALU_DEP_1)
	v_div_fmas_f32 v9, v9, v10, v11
	v_div_fixup_f32 v8, v9, v42, v8
	global_store_b32 v[6:7], v8, off offset:4
	flat_load_b32 v8, v[4:5] offset:8
	s_waitcnt vmcnt(0) lgkmcnt(0)
	v_div_scale_f32 v9, null, v42, v42, v8
	v_div_scale_f32 v12, vcc_lo, v8, v42, v8
	s_delay_alu instid0(VALU_DEP_2) | instskip(SKIP_2) | instid1(VALU_DEP_1)
	v_rcp_f32_e32 v10, v9
	s_waitcnt_depctr 0xfff
	v_fma_f32 v11, -v9, v10, 1.0
	v_fmac_f32_e32 v10, v11, v10
	s_delay_alu instid0(VALU_DEP_1) | instskip(NEXT) | instid1(VALU_DEP_1)
	v_mul_f32_e32 v11, v12, v10
	v_fma_f32 v13, -v9, v11, v12
	s_delay_alu instid0(VALU_DEP_1) | instskip(NEXT) | instid1(VALU_DEP_1)
	v_fmac_f32_e32 v11, v13, v10
	v_fma_f32 v9, -v9, v11, v12
	s_delay_alu instid0(VALU_DEP_1) | instskip(NEXT) | instid1(VALU_DEP_1)
	v_div_fmas_f32 v9, v9, v10, v11
	v_div_fixup_f32 v8, v9, v42, v8
	global_store_b32 v[6:7], v8, off offset:8
	flat_load_b32 v8, v[4:5] offset:12
	;; [unrolled: 19-line block ×6, first 2 shown]
	s_waitcnt vmcnt(0) lgkmcnt(0)
	v_div_scale_f32 v5, null, v42, v42, v4
	v_div_scale_f32 v10, vcc_lo, v4, v42, v4
	s_delay_alu instid0(VALU_DEP_2) | instskip(SKIP_2) | instid1(VALU_DEP_1)
	v_rcp_f32_e32 v8, v5
	s_waitcnt_depctr 0xfff
	v_fma_f32 v9, -v5, v8, 1.0
	v_fmac_f32_e32 v8, v9, v8
	s_delay_alu instid0(VALU_DEP_1) | instskip(NEXT) | instid1(VALU_DEP_1)
	v_mul_f32_e32 v9, v10, v8
	v_fma_f32 v11, -v5, v9, v10
	s_delay_alu instid0(VALU_DEP_1) | instskip(NEXT) | instid1(VALU_DEP_1)
	v_fmac_f32_e32 v9, v11, v8
	v_fma_f32 v5, -v5, v9, v10
	s_delay_alu instid0(VALU_DEP_1) | instskip(NEXT) | instid1(VALU_DEP_1)
	v_div_fmas_f32 v5, v5, v8, v9
	v_div_fixup_f32 v4, v5, v42, v4
	global_store_b32 v[6:7], v4, off offset:28
	s_cbranch_scc1 .LBB1_213
.LBB1_214:
	s_and_b32 s2, s48, 7
	s_mov_b32 s3, 0
	s_delay_alu instid0(SALU_CYCLE_1)
	s_cmp_eq_u64 s[2:3], 0
	s_cbranch_scc1 .LBB1_217
; %bb.215:
	s_mov_b64 s[4:5], s[2:3]
	s_set_inst_prefetch_distance 0x1
	.p2align	6
.LBB1_216:                              ; =>This Inner Loop Header: Depth=1
	s_lshl_b64 s[6:7], s[0:1], 2
	s_add_i32 s2, s0, 1
	v_add_co_u32 v4, vcc_lo, v0, s6
	v_add_co_ci_u32_e32 v5, vcc_lo, s7, v1, vcc_lo
	s_add_u32 s4, s4, -1
	s_addc_u32 s5, s5, -1
	s_mov_b64 s[0:1], s[2:3]
	flat_load_b32 v6, v[4:5]
	s_cmp_lg_u64 s[4:5], 0
	s_waitcnt vmcnt(0) lgkmcnt(0)
	v_div_scale_f32 v4, null, v42, v42, v6
	v_div_scale_f32 v8, vcc_lo, v6, v42, v6
	s_delay_alu instid0(VALU_DEP_2) | instskip(SKIP_2) | instid1(VALU_DEP_1)
	v_rcp_f32_e32 v5, v4
	s_waitcnt_depctr 0xfff
	v_fma_f32 v7, -v4, v5, 1.0
	v_fmac_f32_e32 v5, v7, v5
	s_delay_alu instid0(VALU_DEP_1) | instskip(NEXT) | instid1(VALU_DEP_1)
	v_mul_f32_e32 v7, v8, v5
	v_fma_f32 v9, -v4, v7, v8
	s_delay_alu instid0(VALU_DEP_1) | instskip(NEXT) | instid1(VALU_DEP_1)
	v_fmac_f32_e32 v7, v9, v5
	v_fma_f32 v4, -v4, v7, v8
	s_delay_alu instid0(VALU_DEP_1) | instskip(SKIP_2) | instid1(VALU_DEP_3)
	v_div_fmas_f32 v7, v4, v5, v7
	v_add_co_u32 v4, vcc_lo, v2, s6
	v_add_co_ci_u32_e32 v5, vcc_lo, s7, v3, vcc_lo
	v_div_fixup_f32 v6, v7, v42, v6
	global_store_b32 v[4:5], v6, off
	s_cbranch_scc1 .LBB1_216
.LBB1_217:
	s_set_inst_prefetch_distance 0x2
	s_nop 0
	s_sendmsg sendmsg(MSG_DEALLOC_VGPRS)
	s_endpgm
	.section	.rodata,"a",@progbits
	.p2align	6, 0x0
	.amdhsa_kernel _Z21moe_fused_gate_kernelItLi32ELi256ELi8ELi1EEvPvS0_PfPilllldi
		.amdhsa_group_segment_fixed_size 0
		.amdhsa_private_segment_fixed_size 0
		.amdhsa_kernarg_size 76
		.amdhsa_user_sgpr_count 15
		.amdhsa_user_sgpr_dispatch_ptr 0
		.amdhsa_user_sgpr_queue_ptr 0
		.amdhsa_user_sgpr_kernarg_segment_ptr 1
		.amdhsa_user_sgpr_dispatch_id 0
		.amdhsa_user_sgpr_private_segment_size 0
		.amdhsa_wavefront_size32 1
		.amdhsa_uses_dynamic_stack 0
		.amdhsa_enable_private_segment 0
		.amdhsa_system_sgpr_workgroup_id_x 1
		.amdhsa_system_sgpr_workgroup_id_y 0
		.amdhsa_system_sgpr_workgroup_id_z 0
		.amdhsa_system_sgpr_workgroup_info 0
		.amdhsa_system_vgpr_workitem_id 1
		.amdhsa_next_free_vgpr 81
		.amdhsa_next_free_sgpr 52
		.amdhsa_reserve_vcc 1
		.amdhsa_float_round_mode_32 0
		.amdhsa_float_round_mode_16_64 0
		.amdhsa_float_denorm_mode_32 3
		.amdhsa_float_denorm_mode_16_64 3
		.amdhsa_dx10_clamp 1
		.amdhsa_ieee_mode 1
		.amdhsa_fp16_overflow 0
		.amdhsa_workgroup_processor_mode 1
		.amdhsa_memory_ordered 1
		.amdhsa_forward_progress 0
		.amdhsa_shared_vgpr_count 0
		.amdhsa_exception_fp_ieee_invalid_op 0
		.amdhsa_exception_fp_denorm_src 0
		.amdhsa_exception_fp_ieee_div_zero 0
		.amdhsa_exception_fp_ieee_overflow 0
		.amdhsa_exception_fp_ieee_underflow 0
		.amdhsa_exception_fp_ieee_inexact 0
		.amdhsa_exception_int_div_zero 0
	.end_amdhsa_kernel
	.section	.text._Z21moe_fused_gate_kernelItLi32ELi256ELi8ELi1EEvPvS0_PfPilllldi,"axG",@progbits,_Z21moe_fused_gate_kernelItLi32ELi256ELi8ELi1EEvPvS0_PfPilllldi,comdat
.Lfunc_end1:
	.size	_Z21moe_fused_gate_kernelItLi32ELi256ELi8ELi1EEvPvS0_PfPilllldi, .Lfunc_end1-_Z21moe_fused_gate_kernelItLi32ELi256ELi8ELi1EEvPvS0_PfPilllldi
                                        ; -- End function
	.section	.AMDGPU.csdata,"",@progbits
; Kernel info:
; codeLenInByte = 14108
; NumSgprs: 54
; NumVgprs: 81
; ScratchSize: 0
; MemoryBound: 1
; FloatMode: 240
; IeeeMode: 1
; LDSByteSize: 0 bytes/workgroup (compile time only)
; SGPRBlocks: 6
; VGPRBlocks: 10
; NumSGPRsForWavesPerEU: 54
; NumVGPRsForWavesPerEU: 81
; Occupancy: 16
; WaveLimiterHint : 0
; COMPUTE_PGM_RSRC2:SCRATCH_EN: 0
; COMPUTE_PGM_RSRC2:USER_SGPR: 15
; COMPUTE_PGM_RSRC2:TRAP_HANDLER: 0
; COMPUTE_PGM_RSRC2:TGID_X_EN: 1
; COMPUTE_PGM_RSRC2:TGID_Y_EN: 0
; COMPUTE_PGM_RSRC2:TGID_Z_EN: 0
; COMPUTE_PGM_RSRC2:TIDIG_COMP_CNT: 1
	.section	.text._Z21moe_fused_gate_kernelIDF16_Li32ELi256ELi8ELi1EEvPvS0_PfPilllldi,"axG",@progbits,_Z21moe_fused_gate_kernelIDF16_Li32ELi256ELi8ELi1EEvPvS0_PfPilllldi,comdat
	.protected	_Z21moe_fused_gate_kernelIDF16_Li32ELi256ELi8ELi1EEvPvS0_PfPilllldi ; -- Begin function _Z21moe_fused_gate_kernelIDF16_Li32ELi256ELi8ELi1EEvPvS0_PfPilllldi
	.globl	_Z21moe_fused_gate_kernelIDF16_Li32ELi256ELi8ELi1EEvPvS0_PfPilllldi
	.p2align	8
	.type	_Z21moe_fused_gate_kernelIDF16_Li32ELi256ELi8ELi1EEvPvS0_PfPilllldi,@function
_Z21moe_fused_gate_kernelIDF16_Li32ELi256ELi8ELi1EEvPvS0_PfPilllldi: ; @_Z21moe_fused_gate_kernelIDF16_Li32ELi256ELi8ELi1EEvPvS0_PfPilllldi
; %bb.0:
	s_load_b512 s[36:51], s[0:1], 0x0
	v_bfe_u32 v1, v0, 10, 10
	v_dual_mov_b32 v35, 0 :: v_dual_and_b32 v0, 0x3ff, v0
	s_mov_b32 s2, exec_lo
	s_delay_alu instid0(VALU_DEP_2) | instskip(NEXT) | instid1(VALU_DEP_2)
	v_add_nc_u32_e32 v1, s15, v1
	v_lshrrev_b32_e32 v41, 3, v0
	s_delay_alu instid0(VALU_DEP_3) | instskip(NEXT) | instid1(VALU_DEP_2)
	v_mov_b32_e32 v33, v35
	v_lshl_add_u32 v32, v1, 2, v41
	s_waitcnt lgkmcnt(0)
	s_delay_alu instid0(VALU_DEP_1)
	v_cmpx_gt_i64_e64 s[44:45], v[32:33]
	s_cbranch_execz .LBB2_217
; %bb.1:
	v_and_b32_e32 v34, 7, v0
	v_lshlrev_b64 v[0:1], 9, v[32:33]
	s_mov_b32 s2, exec_lo
	s_delay_alu instid0(VALU_DEP_2) | instskip(NEXT) | instid1(VALU_DEP_2)
	v_lshlrev_b32_e32 v12, 6, v34
	v_add_co_u32 v0, vcc_lo, s36, v0
	s_delay_alu instid0(VALU_DEP_3) | instskip(NEXT) | instid1(VALU_DEP_2)
	v_add_co_ci_u32_e32 v1, vcc_lo, s37, v1, vcc_lo
	v_add_co_u32 v0, vcc_lo, v0, v12
	s_delay_alu instid0(VALU_DEP_2)
	v_add_co_ci_u32_e32 v1, vcc_lo, 0, v1, vcc_lo
	s_clause 0x3
	global_load_b128 v[24:27], v[0:1], off offset:16
	global_load_b128 v[28:31], v[0:1], off
	global_load_b128 v[16:19], v[0:1], off offset:48
	global_load_b128 v[20:23], v[0:1], off offset:32
	s_clause 0x3
	global_load_b128 v[0:3], v12, s[38:39] offset:48
	global_load_b128 v[4:7], v12, s[38:39] offset:32
	;; [unrolled: 1-line block ×3, first 2 shown]
	global_load_b128 v[12:15], v12, s[38:39]
	s_waitcnt vmcnt(6)
	v_cmpx_o_f16_e32 v28, v28
	s_cbranch_execz .LBB2_3
; %bb.2:
	v_cvt_f32_f16_e64 v35, -v28
	s_mov_b32 s3, 0x3fb8aa3b
	s_delay_alu instid0(VALU_DEP_1) | instskip(SKIP_1) | instid1(VALU_DEP_2)
	v_mul_f32_e32 v36, 0x3fb8aa3b, v35
	v_cmp_ngt_f32_e32 vcc_lo, 0xc2ce8ed0, v35
	v_rndne_f32_e32 v37, v36
	v_fma_mix_f32 v38, -v28, s3, -v36 op_sel_hi:[1,0,0]
	s_mov_b32 s3, 0x32a5705f
	s_delay_alu instid0(VALU_DEP_2) | instskip(NEXT) | instid1(VALU_DEP_2)
	v_sub_f32_e32 v36, v36, v37
	v_fma_mix_f32 v38, -v28, s3, v38 op_sel_hi:[1,0,0]
	v_cvt_i32_f32_e32 v37, v37
	s_delay_alu instid0(VALU_DEP_2) | instskip(NEXT) | instid1(VALU_DEP_1)
	v_add_f32_e32 v36, v36, v38
	v_exp_f32_e32 v36, v36
	s_waitcnt_depctr 0xfff
	v_ldexp_f32 v36, v36, v37
	s_delay_alu instid0(VALU_DEP_1) | instskip(SKIP_1) | instid1(VALU_DEP_2)
	v_cndmask_b32_e32 v36, 0, v36, vcc_lo
	v_cmp_nlt_f32_e32 vcc_lo, 0x42b17218, v35
	v_cndmask_b32_e32 v35, 0x7f800000, v36, vcc_lo
	s_delay_alu instid0(VALU_DEP_1) | instskip(NEXT) | instid1(VALU_DEP_1)
	v_add_f32_e32 v35, 1.0, v35
	v_div_scale_f32 v36, null, v35, v35, 1.0
	s_delay_alu instid0(VALU_DEP_1) | instskip(SKIP_2) | instid1(VALU_DEP_1)
	v_rcp_f32_e32 v37, v36
	s_waitcnt_depctr 0xfff
	v_fma_f32 v38, -v36, v37, 1.0
	v_fmac_f32_e32 v37, v38, v37
	v_div_scale_f32 v38, vcc_lo, 1.0, v35, 1.0
	s_delay_alu instid0(VALU_DEP_1) | instskip(NEXT) | instid1(VALU_DEP_1)
	v_mul_f32_e32 v39, v38, v37
	v_fma_f32 v40, -v36, v39, v38
	s_delay_alu instid0(VALU_DEP_1) | instskip(NEXT) | instid1(VALU_DEP_1)
	v_fmac_f32_e32 v39, v40, v37
	v_fma_f32 v36, -v36, v39, v38
	s_delay_alu instid0(VALU_DEP_1) | instskip(NEXT) | instid1(VALU_DEP_1)
	v_div_fmas_f32 v36, v36, v37, v39
	v_div_fixup_f32 v35, v36, v35, 1.0
.LBB2_3:
	s_or_b32 exec_lo, exec_lo, s2
	v_lshrrev_b32_e32 v37, 16, v28
	v_mov_b32_e32 v28, 0
	v_mov_b32_e32 v36, 0
	s_mov_b32 s2, exec_lo
	s_delay_alu instid0(VALU_DEP_3)
	v_cmpx_o_f16_e32 v37, v37
	s_cbranch_execz .LBB2_5
; %bb.4:
	v_cvt_f32_f16_e64 v36, -v37
	s_mov_b32 s3, 0x3fb8aa3b
	s_delay_alu instid0(VALU_DEP_1) | instskip(SKIP_1) | instid1(VALU_DEP_1)
	v_cmp_ngt_f32_e32 vcc_lo, 0xc2ce8ed0, v36
	v_mul_f32_e32 v38, 0x3fb8aa3b, v36
	v_rndne_f32_e32 v39, v38
	v_fma_mix_f32 v40, -v37, s3, -v38 op_sel_hi:[1,0,0]
	s_mov_b32 s3, 0x32a5705f
	s_delay_alu instid0(VALU_DEP_2) | instskip(NEXT) | instid1(VALU_DEP_2)
	v_sub_f32_e32 v38, v38, v39
	v_fma_mix_f32 v37, -v37, s3, v40 op_sel_hi:[1,0,0]
	s_delay_alu instid0(VALU_DEP_1) | instskip(SKIP_1) | instid1(VALU_DEP_2)
	v_add_f32_e32 v37, v38, v37
	v_cvt_i32_f32_e32 v38, v39
	v_exp_f32_e32 v37, v37
	s_waitcnt_depctr 0xfff
	v_ldexp_f32 v37, v37, v38
	s_delay_alu instid0(VALU_DEP_1) | instskip(SKIP_1) | instid1(VALU_DEP_2)
	v_cndmask_b32_e32 v37, 0, v37, vcc_lo
	v_cmp_nlt_f32_e32 vcc_lo, 0x42b17218, v36
	v_cndmask_b32_e32 v36, 0x7f800000, v37, vcc_lo
	s_delay_alu instid0(VALU_DEP_1) | instskip(NEXT) | instid1(VALU_DEP_1)
	v_add_f32_e32 v36, 1.0, v36
	v_div_scale_f32 v37, null, v36, v36, 1.0
	s_delay_alu instid0(VALU_DEP_1) | instskip(SKIP_2) | instid1(VALU_DEP_1)
	v_rcp_f32_e32 v38, v37
	s_waitcnt_depctr 0xfff
	v_fma_f32 v39, -v37, v38, 1.0
	v_fmac_f32_e32 v38, v39, v38
	v_div_scale_f32 v39, vcc_lo, 1.0, v36, 1.0
	s_delay_alu instid0(VALU_DEP_1) | instskip(NEXT) | instid1(VALU_DEP_1)
	v_mul_f32_e32 v40, v39, v38
	v_fma_f32 v42, -v37, v40, v39
	s_delay_alu instid0(VALU_DEP_1) | instskip(NEXT) | instid1(VALU_DEP_1)
	v_fmac_f32_e32 v40, v42, v38
	v_fma_f32 v37, -v37, v40, v39
	s_delay_alu instid0(VALU_DEP_1) | instskip(NEXT) | instid1(VALU_DEP_1)
	v_div_fmas_f32 v37, v37, v38, v40
	v_div_fixup_f32 v36, v37, v36, 1.0
.LBB2_5:
	s_or_b32 exec_lo, exec_lo, s2
	s_delay_alu instid0(SALU_CYCLE_1)
	s_mov_b32 s2, exec_lo
	v_cmpx_o_f16_e32 v29, v29
	s_cbranch_execz .LBB2_7
; %bb.6:
	v_cvt_f32_f16_e64 v28, -v29
	s_mov_b32 s3, 0x3fb8aa3b
	s_delay_alu instid0(VALU_DEP_1) | instskip(SKIP_1) | instid1(VALU_DEP_2)
	v_mul_f32_e32 v37, 0x3fb8aa3b, v28
	v_cmp_ngt_f32_e32 vcc_lo, 0xc2ce8ed0, v28
	v_rndne_f32_e32 v38, v37
	v_fma_mix_f32 v39, -v29, s3, -v37 op_sel_hi:[1,0,0]
	s_mov_b32 s3, 0x32a5705f
	s_delay_alu instid0(VALU_DEP_2) | instskip(NEXT) | instid1(VALU_DEP_2)
	v_sub_f32_e32 v37, v37, v38
	v_fma_mix_f32 v39, -v29, s3, v39 op_sel_hi:[1,0,0]
	v_cvt_i32_f32_e32 v38, v38
	s_delay_alu instid0(VALU_DEP_2) | instskip(NEXT) | instid1(VALU_DEP_1)
	v_add_f32_e32 v37, v37, v39
	v_exp_f32_e32 v37, v37
	s_waitcnt_depctr 0xfff
	v_ldexp_f32 v37, v37, v38
	s_delay_alu instid0(VALU_DEP_1) | instskip(SKIP_1) | instid1(VALU_DEP_2)
	v_cndmask_b32_e32 v37, 0, v37, vcc_lo
	v_cmp_nlt_f32_e32 vcc_lo, 0x42b17218, v28
	v_cndmask_b32_e32 v28, 0x7f800000, v37, vcc_lo
	s_delay_alu instid0(VALU_DEP_1) | instskip(NEXT) | instid1(VALU_DEP_1)
	v_add_f32_e32 v28, 1.0, v28
	v_div_scale_f32 v37, null, v28, v28, 1.0
	s_delay_alu instid0(VALU_DEP_1) | instskip(SKIP_2) | instid1(VALU_DEP_1)
	v_rcp_f32_e32 v38, v37
	s_waitcnt_depctr 0xfff
	v_fma_f32 v39, -v37, v38, 1.0
	v_fmac_f32_e32 v38, v39, v38
	v_div_scale_f32 v39, vcc_lo, 1.0, v28, 1.0
	s_delay_alu instid0(VALU_DEP_1) | instskip(NEXT) | instid1(VALU_DEP_1)
	v_mul_f32_e32 v40, v39, v38
	v_fma_f32 v42, -v37, v40, v39
	s_delay_alu instid0(VALU_DEP_1) | instskip(NEXT) | instid1(VALU_DEP_1)
	v_fmac_f32_e32 v40, v42, v38
	v_fma_f32 v37, -v37, v40, v39
	s_delay_alu instid0(VALU_DEP_1) | instskip(NEXT) | instid1(VALU_DEP_1)
	v_div_fmas_f32 v37, v37, v38, v40
	v_div_fixup_f32 v28, v37, v28, 1.0
.LBB2_7:
	s_or_b32 exec_lo, exec_lo, s2
	v_lshrrev_b32_e32 v38, 16, v29
	v_mov_b32_e32 v29, 0
	v_mov_b32_e32 v37, 0
	s_mov_b32 s2, exec_lo
	s_delay_alu instid0(VALU_DEP_3)
	v_cmpx_o_f16_e32 v38, v38
	s_cbranch_execz .LBB2_9
; %bb.8:
	v_cvt_f32_f16_e64 v37, -v38
	s_mov_b32 s3, 0x3fb8aa3b
	s_delay_alu instid0(VALU_DEP_1) | instskip(SKIP_1) | instid1(VALU_DEP_1)
	v_cmp_ngt_f32_e32 vcc_lo, 0xc2ce8ed0, v37
	v_mul_f32_e32 v39, 0x3fb8aa3b, v37
	v_rndne_f32_e32 v40, v39
	v_fma_mix_f32 v42, -v38, s3, -v39 op_sel_hi:[1,0,0]
	s_mov_b32 s3, 0x32a5705f
	s_delay_alu instid0(VALU_DEP_2) | instskip(NEXT) | instid1(VALU_DEP_2)
	v_sub_f32_e32 v39, v39, v40
	v_fma_mix_f32 v38, -v38, s3, v42 op_sel_hi:[1,0,0]
	s_delay_alu instid0(VALU_DEP_1) | instskip(SKIP_1) | instid1(VALU_DEP_2)
	v_add_f32_e32 v38, v39, v38
	v_cvt_i32_f32_e32 v39, v40
	v_exp_f32_e32 v38, v38
	s_waitcnt_depctr 0xfff
	v_ldexp_f32 v38, v38, v39
	s_delay_alu instid0(VALU_DEP_1) | instskip(SKIP_1) | instid1(VALU_DEP_2)
	v_cndmask_b32_e32 v38, 0, v38, vcc_lo
	v_cmp_nlt_f32_e32 vcc_lo, 0x42b17218, v37
	v_cndmask_b32_e32 v37, 0x7f800000, v38, vcc_lo
	s_delay_alu instid0(VALU_DEP_1) | instskip(NEXT) | instid1(VALU_DEP_1)
	v_add_f32_e32 v37, 1.0, v37
	v_div_scale_f32 v38, null, v37, v37, 1.0
	s_delay_alu instid0(VALU_DEP_1) | instskip(SKIP_2) | instid1(VALU_DEP_1)
	v_rcp_f32_e32 v39, v38
	s_waitcnt_depctr 0xfff
	v_fma_f32 v40, -v38, v39, 1.0
	v_fmac_f32_e32 v39, v40, v39
	v_div_scale_f32 v40, vcc_lo, 1.0, v37, 1.0
	s_delay_alu instid0(VALU_DEP_1) | instskip(NEXT) | instid1(VALU_DEP_1)
	v_mul_f32_e32 v42, v40, v39
	v_fma_f32 v43, -v38, v42, v40
	s_delay_alu instid0(VALU_DEP_1) | instskip(NEXT) | instid1(VALU_DEP_1)
	v_fmac_f32_e32 v42, v43, v39
	v_fma_f32 v38, -v38, v42, v40
	s_delay_alu instid0(VALU_DEP_1) | instskip(NEXT) | instid1(VALU_DEP_1)
	v_div_fmas_f32 v38, v38, v39, v42
	v_div_fixup_f32 v37, v38, v37, 1.0
.LBB2_9:
	s_or_b32 exec_lo, exec_lo, s2
	s_delay_alu instid0(SALU_CYCLE_1)
	s_mov_b32 s2, exec_lo
	v_cmpx_o_f16_e32 v30, v30
	s_cbranch_execz .LBB2_11
; %bb.10:
	v_cvt_f32_f16_e64 v29, -v30
	s_mov_b32 s3, 0x3fb8aa3b
	s_delay_alu instid0(VALU_DEP_1) | instskip(SKIP_1) | instid1(VALU_DEP_2)
	v_mul_f32_e32 v38, 0x3fb8aa3b, v29
	v_cmp_ngt_f32_e32 vcc_lo, 0xc2ce8ed0, v29
	v_rndne_f32_e32 v39, v38
	v_fma_mix_f32 v40, -v30, s3, -v38 op_sel_hi:[1,0,0]
	s_mov_b32 s3, 0x32a5705f
	s_delay_alu instid0(VALU_DEP_2) | instskip(NEXT) | instid1(VALU_DEP_2)
	v_sub_f32_e32 v38, v38, v39
	v_fma_mix_f32 v40, -v30, s3, v40 op_sel_hi:[1,0,0]
	v_cvt_i32_f32_e32 v39, v39
	s_delay_alu instid0(VALU_DEP_2) | instskip(NEXT) | instid1(VALU_DEP_1)
	v_add_f32_e32 v38, v38, v40
	v_exp_f32_e32 v38, v38
	s_waitcnt_depctr 0xfff
	v_ldexp_f32 v38, v38, v39
	s_delay_alu instid0(VALU_DEP_1) | instskip(SKIP_1) | instid1(VALU_DEP_2)
	v_cndmask_b32_e32 v38, 0, v38, vcc_lo
	v_cmp_nlt_f32_e32 vcc_lo, 0x42b17218, v29
	v_cndmask_b32_e32 v29, 0x7f800000, v38, vcc_lo
	s_delay_alu instid0(VALU_DEP_1) | instskip(NEXT) | instid1(VALU_DEP_1)
	v_add_f32_e32 v29, 1.0, v29
	v_div_scale_f32 v38, null, v29, v29, 1.0
	s_delay_alu instid0(VALU_DEP_1) | instskip(SKIP_2) | instid1(VALU_DEP_1)
	v_rcp_f32_e32 v39, v38
	s_waitcnt_depctr 0xfff
	v_fma_f32 v40, -v38, v39, 1.0
	v_fmac_f32_e32 v39, v40, v39
	v_div_scale_f32 v40, vcc_lo, 1.0, v29, 1.0
	s_delay_alu instid0(VALU_DEP_1) | instskip(NEXT) | instid1(VALU_DEP_1)
	v_mul_f32_e32 v42, v40, v39
	v_fma_f32 v43, -v38, v42, v40
	s_delay_alu instid0(VALU_DEP_1) | instskip(NEXT) | instid1(VALU_DEP_1)
	v_fmac_f32_e32 v42, v43, v39
	v_fma_f32 v38, -v38, v42, v40
	s_delay_alu instid0(VALU_DEP_1) | instskip(NEXT) | instid1(VALU_DEP_1)
	v_div_fmas_f32 v38, v38, v39, v42
	v_div_fixup_f32 v29, v38, v29, 1.0
.LBB2_11:
	s_or_b32 exec_lo, exec_lo, s2
	v_lshrrev_b32_e32 v39, 16, v30
	v_mov_b32_e32 v30, 0
	v_mov_b32_e32 v38, 0
	s_mov_b32 s2, exec_lo
	s_delay_alu instid0(VALU_DEP_3)
	v_cmpx_o_f16_e32 v39, v39
	s_cbranch_execz .LBB2_13
; %bb.12:
	v_cvt_f32_f16_e64 v38, -v39
	s_mov_b32 s3, 0x3fb8aa3b
	s_delay_alu instid0(VALU_DEP_1) | instskip(SKIP_1) | instid1(VALU_DEP_1)
	v_cmp_ngt_f32_e32 vcc_lo, 0xc2ce8ed0, v38
	v_mul_f32_e32 v40, 0x3fb8aa3b, v38
	v_rndne_f32_e32 v42, v40
	v_fma_mix_f32 v43, -v39, s3, -v40 op_sel_hi:[1,0,0]
	s_mov_b32 s3, 0x32a5705f
	s_delay_alu instid0(VALU_DEP_2) | instskip(NEXT) | instid1(VALU_DEP_2)
	v_sub_f32_e32 v40, v40, v42
	v_fma_mix_f32 v39, -v39, s3, v43 op_sel_hi:[1,0,0]
	s_delay_alu instid0(VALU_DEP_1) | instskip(SKIP_1) | instid1(VALU_DEP_2)
	v_add_f32_e32 v39, v40, v39
	v_cvt_i32_f32_e32 v40, v42
	v_exp_f32_e32 v39, v39
	s_waitcnt_depctr 0xfff
	v_ldexp_f32 v39, v39, v40
	s_delay_alu instid0(VALU_DEP_1) | instskip(SKIP_1) | instid1(VALU_DEP_2)
	v_cndmask_b32_e32 v39, 0, v39, vcc_lo
	v_cmp_nlt_f32_e32 vcc_lo, 0x42b17218, v38
	v_cndmask_b32_e32 v38, 0x7f800000, v39, vcc_lo
	s_delay_alu instid0(VALU_DEP_1) | instskip(NEXT) | instid1(VALU_DEP_1)
	v_add_f32_e32 v38, 1.0, v38
	v_div_scale_f32 v39, null, v38, v38, 1.0
	s_delay_alu instid0(VALU_DEP_1) | instskip(SKIP_2) | instid1(VALU_DEP_1)
	v_rcp_f32_e32 v40, v39
	s_waitcnt_depctr 0xfff
	v_fma_f32 v42, -v39, v40, 1.0
	v_fmac_f32_e32 v40, v42, v40
	v_div_scale_f32 v42, vcc_lo, 1.0, v38, 1.0
	s_delay_alu instid0(VALU_DEP_1) | instskip(NEXT) | instid1(VALU_DEP_1)
	v_mul_f32_e32 v43, v42, v40
	v_fma_f32 v44, -v39, v43, v42
	s_delay_alu instid0(VALU_DEP_1) | instskip(NEXT) | instid1(VALU_DEP_1)
	v_fmac_f32_e32 v43, v44, v40
	v_fma_f32 v39, -v39, v43, v42
	s_delay_alu instid0(VALU_DEP_1) | instskip(NEXT) | instid1(VALU_DEP_1)
	v_div_fmas_f32 v39, v39, v40, v43
	v_div_fixup_f32 v38, v39, v38, 1.0
.LBB2_13:
	s_or_b32 exec_lo, exec_lo, s2
	s_delay_alu instid0(SALU_CYCLE_1)
	s_mov_b32 s2, exec_lo
	v_cmpx_o_f16_e32 v31, v31
	s_cbranch_execz .LBB2_15
; %bb.14:
	v_cvt_f32_f16_e64 v30, -v31
	s_mov_b32 s3, 0x3fb8aa3b
	s_delay_alu instid0(VALU_DEP_1) | instskip(SKIP_1) | instid1(VALU_DEP_2)
	v_mul_f32_e32 v39, 0x3fb8aa3b, v30
	v_cmp_ngt_f32_e32 vcc_lo, 0xc2ce8ed0, v30
	v_rndne_f32_e32 v40, v39
	v_fma_mix_f32 v42, -v31, s3, -v39 op_sel_hi:[1,0,0]
	s_mov_b32 s3, 0x32a5705f
	s_delay_alu instid0(VALU_DEP_2) | instskip(NEXT) | instid1(VALU_DEP_2)
	v_sub_f32_e32 v39, v39, v40
	v_fma_mix_f32 v42, -v31, s3, v42 op_sel_hi:[1,0,0]
	v_cvt_i32_f32_e32 v40, v40
	s_delay_alu instid0(VALU_DEP_2) | instskip(NEXT) | instid1(VALU_DEP_1)
	v_add_f32_e32 v39, v39, v42
	v_exp_f32_e32 v39, v39
	s_waitcnt_depctr 0xfff
	v_ldexp_f32 v39, v39, v40
	s_delay_alu instid0(VALU_DEP_1) | instskip(SKIP_1) | instid1(VALU_DEP_2)
	v_cndmask_b32_e32 v39, 0, v39, vcc_lo
	v_cmp_nlt_f32_e32 vcc_lo, 0x42b17218, v30
	v_cndmask_b32_e32 v30, 0x7f800000, v39, vcc_lo
	s_delay_alu instid0(VALU_DEP_1) | instskip(NEXT) | instid1(VALU_DEP_1)
	v_add_f32_e32 v30, 1.0, v30
	v_div_scale_f32 v39, null, v30, v30, 1.0
	s_delay_alu instid0(VALU_DEP_1) | instskip(SKIP_2) | instid1(VALU_DEP_1)
	v_rcp_f32_e32 v40, v39
	s_waitcnt_depctr 0xfff
	v_fma_f32 v42, -v39, v40, 1.0
	v_fmac_f32_e32 v40, v42, v40
	v_div_scale_f32 v42, vcc_lo, 1.0, v30, 1.0
	s_delay_alu instid0(VALU_DEP_1) | instskip(NEXT) | instid1(VALU_DEP_1)
	v_mul_f32_e32 v43, v42, v40
	v_fma_f32 v44, -v39, v43, v42
	s_delay_alu instid0(VALU_DEP_1) | instskip(NEXT) | instid1(VALU_DEP_1)
	v_fmac_f32_e32 v43, v44, v40
	v_fma_f32 v39, -v39, v43, v42
	s_delay_alu instid0(VALU_DEP_1) | instskip(NEXT) | instid1(VALU_DEP_1)
	v_div_fmas_f32 v39, v39, v40, v43
	v_div_fixup_f32 v30, v39, v30, 1.0
.LBB2_15:
	s_or_b32 exec_lo, exec_lo, s2
	v_lshrrev_b32_e32 v40, 16, v31
	v_mov_b32_e32 v31, 0
	v_mov_b32_e32 v39, 0
	s_mov_b32 s2, exec_lo
	s_delay_alu instid0(VALU_DEP_3)
	v_cmpx_o_f16_e32 v40, v40
	s_cbranch_execz .LBB2_17
; %bb.16:
	v_cvt_f32_f16_e64 v39, -v40
	s_mov_b32 s3, 0x3fb8aa3b
	s_delay_alu instid0(VALU_DEP_1) | instskip(SKIP_1) | instid1(VALU_DEP_2)
	v_mul_f32_e32 v42, 0x3fb8aa3b, v39
	v_cmp_ngt_f32_e32 vcc_lo, 0xc2ce8ed0, v39
	v_rndne_f32_e32 v43, v42
	v_fma_mix_f32 v44, -v40, s3, -v42 op_sel_hi:[1,0,0]
	s_mov_b32 s3, 0x32a5705f
	s_delay_alu instid0(VALU_DEP_2) | instskip(NEXT) | instid1(VALU_DEP_2)
	v_sub_f32_e32 v42, v42, v43
	v_fma_mix_f32 v40, -v40, s3, v44 op_sel_hi:[1,0,0]
	s_delay_alu instid0(VALU_DEP_1) | instskip(SKIP_1) | instid1(VALU_DEP_2)
	v_add_f32_e32 v40, v42, v40
	v_cvt_i32_f32_e32 v42, v43
	v_exp_f32_e32 v40, v40
	s_waitcnt_depctr 0xfff
	v_ldexp_f32 v40, v40, v42
	s_delay_alu instid0(VALU_DEP_1) | instskip(SKIP_1) | instid1(VALU_DEP_2)
	v_cndmask_b32_e32 v40, 0, v40, vcc_lo
	v_cmp_nlt_f32_e32 vcc_lo, 0x42b17218, v39
	v_cndmask_b32_e32 v39, 0x7f800000, v40, vcc_lo
	s_delay_alu instid0(VALU_DEP_1) | instskip(NEXT) | instid1(VALU_DEP_1)
	v_add_f32_e32 v39, 1.0, v39
	v_div_scale_f32 v40, null, v39, v39, 1.0
	s_delay_alu instid0(VALU_DEP_1) | instskip(SKIP_2) | instid1(VALU_DEP_1)
	v_rcp_f32_e32 v42, v40
	s_waitcnt_depctr 0xfff
	v_fma_f32 v43, -v40, v42, 1.0
	v_fmac_f32_e32 v42, v43, v42
	v_div_scale_f32 v43, vcc_lo, 1.0, v39, 1.0
	s_delay_alu instid0(VALU_DEP_1) | instskip(NEXT) | instid1(VALU_DEP_1)
	v_mul_f32_e32 v44, v43, v42
	v_fma_f32 v45, -v40, v44, v43
	s_delay_alu instid0(VALU_DEP_1) | instskip(NEXT) | instid1(VALU_DEP_1)
	v_fmac_f32_e32 v44, v45, v42
	v_fma_f32 v40, -v40, v44, v43
	s_delay_alu instid0(VALU_DEP_1) | instskip(NEXT) | instid1(VALU_DEP_1)
	v_div_fmas_f32 v40, v40, v42, v44
	v_div_fixup_f32 v39, v40, v39, 1.0
.LBB2_17:
	s_or_b32 exec_lo, exec_lo, s2
	s_delay_alu instid0(SALU_CYCLE_1)
	s_mov_b32 s2, exec_lo
	v_cmpx_o_f16_e32 v24, v24
	s_cbranch_execz .LBB2_19
; %bb.18:
	v_cvt_f32_f16_e64 v31, -v24
	s_mov_b32 s3, 0x3fb8aa3b
	s_delay_alu instid0(VALU_DEP_1) | instskip(SKIP_1) | instid1(VALU_DEP_2)
	v_mul_f32_e32 v40, 0x3fb8aa3b, v31
	v_cmp_ngt_f32_e32 vcc_lo, 0xc2ce8ed0, v31
	v_rndne_f32_e32 v42, v40
	v_fma_mix_f32 v43, -v24, s3, -v40 op_sel_hi:[1,0,0]
	s_mov_b32 s3, 0x32a5705f
	s_delay_alu instid0(VALU_DEP_2) | instskip(NEXT) | instid1(VALU_DEP_2)
	v_sub_f32_e32 v40, v40, v42
	v_fma_mix_f32 v43, -v24, s3, v43 op_sel_hi:[1,0,0]
	v_cvt_i32_f32_e32 v42, v42
	s_delay_alu instid0(VALU_DEP_2) | instskip(NEXT) | instid1(VALU_DEP_1)
	v_add_f32_e32 v40, v40, v43
	v_exp_f32_e32 v40, v40
	s_waitcnt_depctr 0xfff
	v_ldexp_f32 v40, v40, v42
	s_delay_alu instid0(VALU_DEP_1) | instskip(SKIP_1) | instid1(VALU_DEP_2)
	v_cndmask_b32_e32 v40, 0, v40, vcc_lo
	v_cmp_nlt_f32_e32 vcc_lo, 0x42b17218, v31
	v_cndmask_b32_e32 v31, 0x7f800000, v40, vcc_lo
	s_delay_alu instid0(VALU_DEP_1) | instskip(NEXT) | instid1(VALU_DEP_1)
	v_add_f32_e32 v31, 1.0, v31
	v_div_scale_f32 v40, null, v31, v31, 1.0
	s_delay_alu instid0(VALU_DEP_1) | instskip(SKIP_2) | instid1(VALU_DEP_1)
	v_rcp_f32_e32 v42, v40
	s_waitcnt_depctr 0xfff
	v_fma_f32 v43, -v40, v42, 1.0
	v_fmac_f32_e32 v42, v43, v42
	v_div_scale_f32 v43, vcc_lo, 1.0, v31, 1.0
	s_delay_alu instid0(VALU_DEP_1) | instskip(NEXT) | instid1(VALU_DEP_1)
	v_mul_f32_e32 v44, v43, v42
	v_fma_f32 v45, -v40, v44, v43
	s_delay_alu instid0(VALU_DEP_1) | instskip(NEXT) | instid1(VALU_DEP_1)
	v_fmac_f32_e32 v44, v45, v42
	v_fma_f32 v40, -v40, v44, v43
	s_delay_alu instid0(VALU_DEP_1) | instskip(NEXT) | instid1(VALU_DEP_1)
	v_div_fmas_f32 v40, v40, v42, v44
	v_div_fixup_f32 v31, v40, v31, 1.0
.LBB2_19:
	s_or_b32 exec_lo, exec_lo, s2
	v_lshrrev_b32_e32 v42, 16, v24
	v_mov_b32_e32 v24, 0
	v_mov_b32_e32 v40, 0
	s_mov_b32 s2, exec_lo
	s_delay_alu instid0(VALU_DEP_3)
	v_cmpx_o_f16_e32 v42, v42
	s_cbranch_execz .LBB2_21
; %bb.20:
	v_cvt_f32_f16_e64 v40, -v42
	s_mov_b32 s3, 0x3fb8aa3b
	s_delay_alu instid0(VALU_DEP_1) | instskip(SKIP_1) | instid1(VALU_DEP_1)
	v_cmp_ngt_f32_e32 vcc_lo, 0xc2ce8ed0, v40
	v_mul_f32_e32 v43, 0x3fb8aa3b, v40
	v_rndne_f32_e32 v44, v43
	v_fma_mix_f32 v45, -v42, s3, -v43 op_sel_hi:[1,0,0]
	s_mov_b32 s3, 0x32a5705f
	s_delay_alu instid0(VALU_DEP_2) | instskip(NEXT) | instid1(VALU_DEP_2)
	v_sub_f32_e32 v43, v43, v44
	v_fma_mix_f32 v42, -v42, s3, v45 op_sel_hi:[1,0,0]
	s_delay_alu instid0(VALU_DEP_1) | instskip(SKIP_1) | instid1(VALU_DEP_2)
	v_add_f32_e32 v42, v43, v42
	v_cvt_i32_f32_e32 v43, v44
	v_exp_f32_e32 v42, v42
	s_waitcnt_depctr 0xfff
	v_ldexp_f32 v42, v42, v43
	s_delay_alu instid0(VALU_DEP_1) | instskip(SKIP_1) | instid1(VALU_DEP_2)
	v_cndmask_b32_e32 v42, 0, v42, vcc_lo
	v_cmp_nlt_f32_e32 vcc_lo, 0x42b17218, v40
	v_cndmask_b32_e32 v40, 0x7f800000, v42, vcc_lo
	s_delay_alu instid0(VALU_DEP_1) | instskip(NEXT) | instid1(VALU_DEP_1)
	v_add_f32_e32 v40, 1.0, v40
	v_div_scale_f32 v42, null, v40, v40, 1.0
	s_delay_alu instid0(VALU_DEP_1) | instskip(SKIP_2) | instid1(VALU_DEP_1)
	v_rcp_f32_e32 v43, v42
	s_waitcnt_depctr 0xfff
	v_fma_f32 v44, -v42, v43, 1.0
	v_fmac_f32_e32 v43, v44, v43
	v_div_scale_f32 v44, vcc_lo, 1.0, v40, 1.0
	s_delay_alu instid0(VALU_DEP_1) | instskip(NEXT) | instid1(VALU_DEP_1)
	v_mul_f32_e32 v45, v44, v43
	v_fma_f32 v46, -v42, v45, v44
	s_delay_alu instid0(VALU_DEP_1) | instskip(NEXT) | instid1(VALU_DEP_1)
	v_fmac_f32_e32 v45, v46, v43
	v_fma_f32 v42, -v42, v45, v44
	s_delay_alu instid0(VALU_DEP_1) | instskip(NEXT) | instid1(VALU_DEP_1)
	v_div_fmas_f32 v42, v42, v43, v45
	v_div_fixup_f32 v40, v42, v40, 1.0
.LBB2_21:
	s_or_b32 exec_lo, exec_lo, s2
	s_delay_alu instid0(SALU_CYCLE_1)
	s_mov_b32 s2, exec_lo
	v_cmpx_o_f16_e32 v25, v25
	s_cbranch_execz .LBB2_23
; %bb.22:
	v_cvt_f32_f16_e64 v24, -v25
	s_mov_b32 s3, 0x3fb8aa3b
	s_delay_alu instid0(VALU_DEP_1) | instskip(SKIP_1) | instid1(VALU_DEP_2)
	v_mul_f32_e32 v42, 0x3fb8aa3b, v24
	v_cmp_ngt_f32_e32 vcc_lo, 0xc2ce8ed0, v24
	v_rndne_f32_e32 v43, v42
	v_fma_mix_f32 v44, -v25, s3, -v42 op_sel_hi:[1,0,0]
	s_mov_b32 s3, 0x32a5705f
	s_delay_alu instid0(VALU_DEP_2) | instskip(NEXT) | instid1(VALU_DEP_2)
	v_sub_f32_e32 v42, v42, v43
	v_fma_mix_f32 v44, -v25, s3, v44 op_sel_hi:[1,0,0]
	v_cvt_i32_f32_e32 v43, v43
	s_delay_alu instid0(VALU_DEP_2) | instskip(NEXT) | instid1(VALU_DEP_1)
	v_add_f32_e32 v42, v42, v44
	v_exp_f32_e32 v42, v42
	s_waitcnt_depctr 0xfff
	v_ldexp_f32 v42, v42, v43
	s_delay_alu instid0(VALU_DEP_1) | instskip(SKIP_1) | instid1(VALU_DEP_2)
	v_cndmask_b32_e32 v42, 0, v42, vcc_lo
	v_cmp_nlt_f32_e32 vcc_lo, 0x42b17218, v24
	v_cndmask_b32_e32 v24, 0x7f800000, v42, vcc_lo
	s_delay_alu instid0(VALU_DEP_1) | instskip(NEXT) | instid1(VALU_DEP_1)
	v_add_f32_e32 v24, 1.0, v24
	v_div_scale_f32 v42, null, v24, v24, 1.0
	s_delay_alu instid0(VALU_DEP_1) | instskip(SKIP_2) | instid1(VALU_DEP_1)
	v_rcp_f32_e32 v43, v42
	s_waitcnt_depctr 0xfff
	v_fma_f32 v44, -v42, v43, 1.0
	v_fmac_f32_e32 v43, v44, v43
	v_div_scale_f32 v44, vcc_lo, 1.0, v24, 1.0
	s_delay_alu instid0(VALU_DEP_1) | instskip(NEXT) | instid1(VALU_DEP_1)
	v_mul_f32_e32 v45, v44, v43
	v_fma_f32 v46, -v42, v45, v44
	s_delay_alu instid0(VALU_DEP_1) | instskip(NEXT) | instid1(VALU_DEP_1)
	v_fmac_f32_e32 v45, v46, v43
	v_fma_f32 v42, -v42, v45, v44
	s_delay_alu instid0(VALU_DEP_1) | instskip(NEXT) | instid1(VALU_DEP_1)
	v_div_fmas_f32 v42, v42, v43, v45
	v_div_fixup_f32 v24, v42, v24, 1.0
.LBB2_23:
	s_or_b32 exec_lo, exec_lo, s2
	v_lshrrev_b32_e32 v43, 16, v25
	v_dual_mov_b32 v25, 0 :: v_dual_mov_b32 v42, 0
	s_mov_b32 s2, exec_lo
	s_delay_alu instid0(VALU_DEP_2)
	v_cmpx_o_f16_e32 v43, v43
	s_cbranch_execz .LBB2_25
; %bb.24:
	v_cvt_f32_f16_e64 v42, -v43
	s_mov_b32 s3, 0x3fb8aa3b
	s_delay_alu instid0(VALU_DEP_1) | instskip(SKIP_1) | instid1(VALU_DEP_1)
	v_cmp_ngt_f32_e32 vcc_lo, 0xc2ce8ed0, v42
	v_mul_f32_e32 v44, 0x3fb8aa3b, v42
	v_rndne_f32_e32 v45, v44
	v_fma_mix_f32 v46, -v43, s3, -v44 op_sel_hi:[1,0,0]
	s_mov_b32 s3, 0x32a5705f
	s_delay_alu instid0(VALU_DEP_2) | instskip(NEXT) | instid1(VALU_DEP_2)
	v_sub_f32_e32 v44, v44, v45
	v_fma_mix_f32 v43, -v43, s3, v46 op_sel_hi:[1,0,0]
	s_delay_alu instid0(VALU_DEP_1) | instskip(SKIP_1) | instid1(VALU_DEP_2)
	v_add_f32_e32 v43, v44, v43
	v_cvt_i32_f32_e32 v44, v45
	v_exp_f32_e32 v43, v43
	s_waitcnt_depctr 0xfff
	v_ldexp_f32 v43, v43, v44
	s_delay_alu instid0(VALU_DEP_1) | instskip(SKIP_1) | instid1(VALU_DEP_2)
	v_cndmask_b32_e32 v43, 0, v43, vcc_lo
	v_cmp_nlt_f32_e32 vcc_lo, 0x42b17218, v42
	v_cndmask_b32_e32 v42, 0x7f800000, v43, vcc_lo
	s_delay_alu instid0(VALU_DEP_1) | instskip(NEXT) | instid1(VALU_DEP_1)
	v_add_f32_e32 v42, 1.0, v42
	v_div_scale_f32 v43, null, v42, v42, 1.0
	s_delay_alu instid0(VALU_DEP_1) | instskip(SKIP_2) | instid1(VALU_DEP_1)
	v_rcp_f32_e32 v44, v43
	s_waitcnt_depctr 0xfff
	v_fma_f32 v45, -v43, v44, 1.0
	v_fmac_f32_e32 v44, v45, v44
	v_div_scale_f32 v45, vcc_lo, 1.0, v42, 1.0
	s_delay_alu instid0(VALU_DEP_1) | instskip(NEXT) | instid1(VALU_DEP_1)
	v_mul_f32_e32 v46, v45, v44
	v_fma_f32 v47, -v43, v46, v45
	s_delay_alu instid0(VALU_DEP_1) | instskip(NEXT) | instid1(VALU_DEP_1)
	v_fmac_f32_e32 v46, v47, v44
	v_fma_f32 v43, -v43, v46, v45
	s_delay_alu instid0(VALU_DEP_1) | instskip(NEXT) | instid1(VALU_DEP_1)
	v_div_fmas_f32 v43, v43, v44, v46
	v_div_fixup_f32 v42, v43, v42, 1.0
.LBB2_25:
	s_or_b32 exec_lo, exec_lo, s2
	s_delay_alu instid0(SALU_CYCLE_1)
	s_mov_b32 s2, exec_lo
	v_cmpx_o_f16_e32 v26, v26
	s_cbranch_execz .LBB2_27
; %bb.26:
	v_cvt_f32_f16_e64 v25, -v26
	s_mov_b32 s3, 0x3fb8aa3b
	s_delay_alu instid0(VALU_DEP_1) | instskip(SKIP_1) | instid1(VALU_DEP_2)
	v_mul_f32_e32 v43, 0x3fb8aa3b, v25
	v_cmp_ngt_f32_e32 vcc_lo, 0xc2ce8ed0, v25
	v_rndne_f32_e32 v44, v43
	v_fma_mix_f32 v45, -v26, s3, -v43 op_sel_hi:[1,0,0]
	s_mov_b32 s3, 0x32a5705f
	s_delay_alu instid0(VALU_DEP_2) | instskip(NEXT) | instid1(VALU_DEP_2)
	v_sub_f32_e32 v43, v43, v44
	v_fma_mix_f32 v45, -v26, s3, v45 op_sel_hi:[1,0,0]
	v_cvt_i32_f32_e32 v44, v44
	s_delay_alu instid0(VALU_DEP_2) | instskip(NEXT) | instid1(VALU_DEP_1)
	v_add_f32_e32 v43, v43, v45
	v_exp_f32_e32 v43, v43
	s_waitcnt_depctr 0xfff
	v_ldexp_f32 v43, v43, v44
	s_delay_alu instid0(VALU_DEP_1) | instskip(SKIP_1) | instid1(VALU_DEP_2)
	v_cndmask_b32_e32 v43, 0, v43, vcc_lo
	v_cmp_nlt_f32_e32 vcc_lo, 0x42b17218, v25
	v_cndmask_b32_e32 v25, 0x7f800000, v43, vcc_lo
	s_delay_alu instid0(VALU_DEP_1) | instskip(NEXT) | instid1(VALU_DEP_1)
	v_add_f32_e32 v25, 1.0, v25
	v_div_scale_f32 v43, null, v25, v25, 1.0
	s_delay_alu instid0(VALU_DEP_1) | instskip(SKIP_2) | instid1(VALU_DEP_1)
	v_rcp_f32_e32 v44, v43
	s_waitcnt_depctr 0xfff
	v_fma_f32 v45, -v43, v44, 1.0
	v_fmac_f32_e32 v44, v45, v44
	v_div_scale_f32 v45, vcc_lo, 1.0, v25, 1.0
	s_delay_alu instid0(VALU_DEP_1) | instskip(NEXT) | instid1(VALU_DEP_1)
	v_mul_f32_e32 v46, v45, v44
	v_fma_f32 v47, -v43, v46, v45
	s_delay_alu instid0(VALU_DEP_1) | instskip(NEXT) | instid1(VALU_DEP_1)
	v_fmac_f32_e32 v46, v47, v44
	v_fma_f32 v43, -v43, v46, v45
	s_delay_alu instid0(VALU_DEP_1) | instskip(NEXT) | instid1(VALU_DEP_1)
	v_div_fmas_f32 v43, v43, v44, v46
	v_div_fixup_f32 v25, v43, v25, 1.0
.LBB2_27:
	s_or_b32 exec_lo, exec_lo, s2
	v_lshrrev_b32_e32 v44, 16, v26
	v_dual_mov_b32 v26, 0 :: v_dual_mov_b32 v43, 0
	s_mov_b32 s2, exec_lo
	s_delay_alu instid0(VALU_DEP_2)
	v_cmpx_o_f16_e32 v44, v44
	s_cbranch_execz .LBB2_29
; %bb.28:
	v_cvt_f32_f16_e64 v43, -v44
	s_mov_b32 s3, 0x3fb8aa3b
	s_delay_alu instid0(VALU_DEP_1) | instskip(SKIP_1) | instid1(VALU_DEP_1)
	v_cmp_ngt_f32_e32 vcc_lo, 0xc2ce8ed0, v43
	v_mul_f32_e32 v45, 0x3fb8aa3b, v43
	v_rndne_f32_e32 v46, v45
	v_fma_mix_f32 v47, -v44, s3, -v45 op_sel_hi:[1,0,0]
	s_mov_b32 s3, 0x32a5705f
	s_delay_alu instid0(VALU_DEP_2) | instskip(NEXT) | instid1(VALU_DEP_2)
	v_sub_f32_e32 v45, v45, v46
	v_fma_mix_f32 v44, -v44, s3, v47 op_sel_hi:[1,0,0]
	s_delay_alu instid0(VALU_DEP_1) | instskip(SKIP_1) | instid1(VALU_DEP_2)
	v_add_f32_e32 v44, v45, v44
	v_cvt_i32_f32_e32 v45, v46
	v_exp_f32_e32 v44, v44
	s_waitcnt_depctr 0xfff
	v_ldexp_f32 v44, v44, v45
	s_delay_alu instid0(VALU_DEP_1) | instskip(SKIP_1) | instid1(VALU_DEP_2)
	v_cndmask_b32_e32 v44, 0, v44, vcc_lo
	v_cmp_nlt_f32_e32 vcc_lo, 0x42b17218, v43
	v_cndmask_b32_e32 v43, 0x7f800000, v44, vcc_lo
	s_delay_alu instid0(VALU_DEP_1) | instskip(NEXT) | instid1(VALU_DEP_1)
	v_add_f32_e32 v43, 1.0, v43
	v_div_scale_f32 v44, null, v43, v43, 1.0
	s_delay_alu instid0(VALU_DEP_1) | instskip(SKIP_2) | instid1(VALU_DEP_1)
	v_rcp_f32_e32 v45, v44
	s_waitcnt_depctr 0xfff
	v_fma_f32 v46, -v44, v45, 1.0
	v_fmac_f32_e32 v45, v46, v45
	v_div_scale_f32 v46, vcc_lo, 1.0, v43, 1.0
	s_delay_alu instid0(VALU_DEP_1) | instskip(NEXT) | instid1(VALU_DEP_1)
	v_mul_f32_e32 v47, v46, v45
	v_fma_f32 v48, -v44, v47, v46
	s_delay_alu instid0(VALU_DEP_1) | instskip(NEXT) | instid1(VALU_DEP_1)
	v_fmac_f32_e32 v47, v48, v45
	v_fma_f32 v44, -v44, v47, v46
	s_delay_alu instid0(VALU_DEP_1) | instskip(NEXT) | instid1(VALU_DEP_1)
	v_div_fmas_f32 v44, v44, v45, v47
	v_div_fixup_f32 v43, v44, v43, 1.0
.LBB2_29:
	s_or_b32 exec_lo, exec_lo, s2
	s_delay_alu instid0(SALU_CYCLE_1)
	s_mov_b32 s2, exec_lo
	v_cmpx_o_f16_e32 v27, v27
	s_cbranch_execz .LBB2_31
; %bb.30:
	v_cvt_f32_f16_e64 v26, -v27
	s_mov_b32 s3, 0x3fb8aa3b
	s_delay_alu instid0(VALU_DEP_1) | instskip(SKIP_1) | instid1(VALU_DEP_2)
	v_mul_f32_e32 v44, 0x3fb8aa3b, v26
	v_cmp_ngt_f32_e32 vcc_lo, 0xc2ce8ed0, v26
	v_rndne_f32_e32 v45, v44
	v_fma_mix_f32 v46, -v27, s3, -v44 op_sel_hi:[1,0,0]
	s_mov_b32 s3, 0x32a5705f
	s_delay_alu instid0(VALU_DEP_2) | instskip(NEXT) | instid1(VALU_DEP_2)
	v_sub_f32_e32 v44, v44, v45
	v_fma_mix_f32 v46, -v27, s3, v46 op_sel_hi:[1,0,0]
	v_cvt_i32_f32_e32 v45, v45
	s_delay_alu instid0(VALU_DEP_2) | instskip(NEXT) | instid1(VALU_DEP_1)
	v_add_f32_e32 v44, v44, v46
	v_exp_f32_e32 v44, v44
	s_waitcnt_depctr 0xfff
	v_ldexp_f32 v44, v44, v45
	s_delay_alu instid0(VALU_DEP_1) | instskip(SKIP_1) | instid1(VALU_DEP_2)
	v_cndmask_b32_e32 v44, 0, v44, vcc_lo
	v_cmp_nlt_f32_e32 vcc_lo, 0x42b17218, v26
	v_cndmask_b32_e32 v26, 0x7f800000, v44, vcc_lo
	s_delay_alu instid0(VALU_DEP_1) | instskip(NEXT) | instid1(VALU_DEP_1)
	v_add_f32_e32 v26, 1.0, v26
	v_div_scale_f32 v44, null, v26, v26, 1.0
	s_delay_alu instid0(VALU_DEP_1) | instskip(SKIP_2) | instid1(VALU_DEP_1)
	v_rcp_f32_e32 v45, v44
	s_waitcnt_depctr 0xfff
	v_fma_f32 v46, -v44, v45, 1.0
	v_fmac_f32_e32 v45, v46, v45
	v_div_scale_f32 v46, vcc_lo, 1.0, v26, 1.0
	s_delay_alu instid0(VALU_DEP_1) | instskip(NEXT) | instid1(VALU_DEP_1)
	v_mul_f32_e32 v47, v46, v45
	v_fma_f32 v48, -v44, v47, v46
	s_delay_alu instid0(VALU_DEP_1) | instskip(NEXT) | instid1(VALU_DEP_1)
	v_fmac_f32_e32 v47, v48, v45
	v_fma_f32 v44, -v44, v47, v46
	s_delay_alu instid0(VALU_DEP_1) | instskip(NEXT) | instid1(VALU_DEP_1)
	v_div_fmas_f32 v44, v44, v45, v47
	v_div_fixup_f32 v26, v44, v26, 1.0
.LBB2_31:
	s_or_b32 exec_lo, exec_lo, s2
	v_lshrrev_b32_e32 v45, 16, v27
	v_dual_mov_b32 v27, 0 :: v_dual_mov_b32 v44, 0
	s_mov_b32 s2, exec_lo
	s_delay_alu instid0(VALU_DEP_2)
	v_cmpx_o_f16_e32 v45, v45
	s_cbranch_execz .LBB2_33
; %bb.32:
	v_cvt_f32_f16_e64 v44, -v45
	s_mov_b32 s3, 0x3fb8aa3b
	s_delay_alu instid0(VALU_DEP_1) | instskip(SKIP_1) | instid1(VALU_DEP_1)
	v_cmp_ngt_f32_e32 vcc_lo, 0xc2ce8ed0, v44
	v_mul_f32_e32 v46, 0x3fb8aa3b, v44
	v_rndne_f32_e32 v47, v46
	v_fma_mix_f32 v48, -v45, s3, -v46 op_sel_hi:[1,0,0]
	s_mov_b32 s3, 0x32a5705f
	s_delay_alu instid0(VALU_DEP_2) | instskip(NEXT) | instid1(VALU_DEP_2)
	v_sub_f32_e32 v46, v46, v47
	v_fma_mix_f32 v45, -v45, s3, v48 op_sel_hi:[1,0,0]
	s_delay_alu instid0(VALU_DEP_1) | instskip(SKIP_1) | instid1(VALU_DEP_2)
	v_add_f32_e32 v45, v46, v45
	v_cvt_i32_f32_e32 v46, v47
	v_exp_f32_e32 v45, v45
	s_waitcnt_depctr 0xfff
	v_ldexp_f32 v45, v45, v46
	s_delay_alu instid0(VALU_DEP_1) | instskip(SKIP_1) | instid1(VALU_DEP_2)
	v_cndmask_b32_e32 v45, 0, v45, vcc_lo
	v_cmp_nlt_f32_e32 vcc_lo, 0x42b17218, v44
	v_cndmask_b32_e32 v44, 0x7f800000, v45, vcc_lo
	s_delay_alu instid0(VALU_DEP_1) | instskip(NEXT) | instid1(VALU_DEP_1)
	v_add_f32_e32 v44, 1.0, v44
	v_div_scale_f32 v45, null, v44, v44, 1.0
	s_delay_alu instid0(VALU_DEP_1) | instskip(SKIP_2) | instid1(VALU_DEP_1)
	v_rcp_f32_e32 v46, v45
	s_waitcnt_depctr 0xfff
	v_fma_f32 v47, -v45, v46, 1.0
	v_fmac_f32_e32 v46, v47, v46
	v_div_scale_f32 v47, vcc_lo, 1.0, v44, 1.0
	s_delay_alu instid0(VALU_DEP_1) | instskip(NEXT) | instid1(VALU_DEP_1)
	v_mul_f32_e32 v48, v47, v46
	v_fma_f32 v49, -v45, v48, v47
	s_delay_alu instid0(VALU_DEP_1) | instskip(NEXT) | instid1(VALU_DEP_1)
	v_fmac_f32_e32 v48, v49, v46
	v_fma_f32 v45, -v45, v48, v47
	s_delay_alu instid0(VALU_DEP_1) | instskip(NEXT) | instid1(VALU_DEP_1)
	v_div_fmas_f32 v45, v45, v46, v48
	v_div_fixup_f32 v44, v45, v44, 1.0
.LBB2_33:
	s_or_b32 exec_lo, exec_lo, s2
	s_delay_alu instid0(SALU_CYCLE_1)
	s_mov_b32 s2, exec_lo
	s_waitcnt vmcnt(4)
	v_cmpx_o_f16_e32 v20, v20
	s_cbranch_execz .LBB2_35
; %bb.34:
	v_cvt_f32_f16_e64 v27, -v20
	s_mov_b32 s3, 0x3fb8aa3b
	s_delay_alu instid0(VALU_DEP_1) | instskip(SKIP_1) | instid1(VALU_DEP_2)
	v_mul_f32_e32 v45, 0x3fb8aa3b, v27
	v_cmp_ngt_f32_e32 vcc_lo, 0xc2ce8ed0, v27
	v_rndne_f32_e32 v46, v45
	v_fma_mix_f32 v47, -v20, s3, -v45 op_sel_hi:[1,0,0]
	s_mov_b32 s3, 0x32a5705f
	s_delay_alu instid0(VALU_DEP_2) | instskip(NEXT) | instid1(VALU_DEP_2)
	v_sub_f32_e32 v45, v45, v46
	v_fma_mix_f32 v47, -v20, s3, v47 op_sel_hi:[1,0,0]
	v_cvt_i32_f32_e32 v46, v46
	s_delay_alu instid0(VALU_DEP_2) | instskip(NEXT) | instid1(VALU_DEP_1)
	v_add_f32_e32 v45, v45, v47
	v_exp_f32_e32 v45, v45
	s_waitcnt_depctr 0xfff
	v_ldexp_f32 v45, v45, v46
	s_delay_alu instid0(VALU_DEP_1) | instskip(SKIP_1) | instid1(VALU_DEP_2)
	v_cndmask_b32_e32 v45, 0, v45, vcc_lo
	v_cmp_nlt_f32_e32 vcc_lo, 0x42b17218, v27
	v_cndmask_b32_e32 v27, 0x7f800000, v45, vcc_lo
	s_delay_alu instid0(VALU_DEP_1) | instskip(NEXT) | instid1(VALU_DEP_1)
	v_add_f32_e32 v27, 1.0, v27
	v_div_scale_f32 v45, null, v27, v27, 1.0
	s_delay_alu instid0(VALU_DEP_1) | instskip(SKIP_2) | instid1(VALU_DEP_1)
	v_rcp_f32_e32 v46, v45
	s_waitcnt_depctr 0xfff
	v_fma_f32 v47, -v45, v46, 1.0
	v_fmac_f32_e32 v46, v47, v46
	v_div_scale_f32 v47, vcc_lo, 1.0, v27, 1.0
	s_delay_alu instid0(VALU_DEP_1) | instskip(NEXT) | instid1(VALU_DEP_1)
	v_mul_f32_e32 v48, v47, v46
	v_fma_f32 v49, -v45, v48, v47
	s_delay_alu instid0(VALU_DEP_1) | instskip(NEXT) | instid1(VALU_DEP_1)
	v_fmac_f32_e32 v48, v49, v46
	v_fma_f32 v45, -v45, v48, v47
	s_delay_alu instid0(VALU_DEP_1) | instskip(NEXT) | instid1(VALU_DEP_1)
	v_div_fmas_f32 v45, v45, v46, v48
	v_div_fixup_f32 v27, v45, v27, 1.0
.LBB2_35:
	s_or_b32 exec_lo, exec_lo, s2
	v_lshrrev_b32_e32 v46, 16, v20
	v_dual_mov_b32 v20, 0 :: v_dual_mov_b32 v45, 0
	s_mov_b32 s2, exec_lo
	s_delay_alu instid0(VALU_DEP_2)
	v_cmpx_o_f16_e32 v46, v46
	s_cbranch_execz .LBB2_37
; %bb.36:
	v_cvt_f32_f16_e64 v45, -v46
	s_mov_b32 s3, 0x3fb8aa3b
	s_delay_alu instid0(VALU_DEP_1) | instskip(SKIP_1) | instid1(VALU_DEP_1)
	v_cmp_ngt_f32_e32 vcc_lo, 0xc2ce8ed0, v45
	v_mul_f32_e32 v47, 0x3fb8aa3b, v45
	v_rndne_f32_e32 v48, v47
	v_fma_mix_f32 v49, -v46, s3, -v47 op_sel_hi:[1,0,0]
	s_mov_b32 s3, 0x32a5705f
	s_delay_alu instid0(VALU_DEP_2) | instskip(NEXT) | instid1(VALU_DEP_2)
	v_sub_f32_e32 v47, v47, v48
	v_fma_mix_f32 v46, -v46, s3, v49 op_sel_hi:[1,0,0]
	s_delay_alu instid0(VALU_DEP_1) | instskip(SKIP_1) | instid1(VALU_DEP_2)
	v_add_f32_e32 v46, v47, v46
	v_cvt_i32_f32_e32 v47, v48
	v_exp_f32_e32 v46, v46
	s_waitcnt_depctr 0xfff
	v_ldexp_f32 v46, v46, v47
	s_delay_alu instid0(VALU_DEP_1) | instskip(SKIP_1) | instid1(VALU_DEP_2)
	v_cndmask_b32_e32 v46, 0, v46, vcc_lo
	v_cmp_nlt_f32_e32 vcc_lo, 0x42b17218, v45
	v_cndmask_b32_e32 v45, 0x7f800000, v46, vcc_lo
	s_delay_alu instid0(VALU_DEP_1) | instskip(NEXT) | instid1(VALU_DEP_1)
	v_add_f32_e32 v45, 1.0, v45
	v_div_scale_f32 v46, null, v45, v45, 1.0
	s_delay_alu instid0(VALU_DEP_1) | instskip(SKIP_2) | instid1(VALU_DEP_1)
	v_rcp_f32_e32 v47, v46
	s_waitcnt_depctr 0xfff
	v_fma_f32 v48, -v46, v47, 1.0
	v_fmac_f32_e32 v47, v48, v47
	v_div_scale_f32 v48, vcc_lo, 1.0, v45, 1.0
	s_delay_alu instid0(VALU_DEP_1) | instskip(NEXT) | instid1(VALU_DEP_1)
	v_mul_f32_e32 v49, v48, v47
	v_fma_f32 v50, -v46, v49, v48
	s_delay_alu instid0(VALU_DEP_1) | instskip(NEXT) | instid1(VALU_DEP_1)
	v_fmac_f32_e32 v49, v50, v47
	v_fma_f32 v46, -v46, v49, v48
	s_delay_alu instid0(VALU_DEP_1) | instskip(NEXT) | instid1(VALU_DEP_1)
	v_div_fmas_f32 v46, v46, v47, v49
	v_div_fixup_f32 v45, v46, v45, 1.0
.LBB2_37:
	s_or_b32 exec_lo, exec_lo, s2
	s_delay_alu instid0(SALU_CYCLE_1)
	s_mov_b32 s2, exec_lo
	v_cmpx_o_f16_e32 v21, v21
	s_cbranch_execz .LBB2_39
; %bb.38:
	v_cvt_f32_f16_e64 v20, -v21
	s_mov_b32 s3, 0x3fb8aa3b
	s_delay_alu instid0(VALU_DEP_1) | instskip(SKIP_1) | instid1(VALU_DEP_2)
	v_mul_f32_e32 v46, 0x3fb8aa3b, v20
	v_cmp_ngt_f32_e32 vcc_lo, 0xc2ce8ed0, v20
	v_rndne_f32_e32 v47, v46
	v_fma_mix_f32 v48, -v21, s3, -v46 op_sel_hi:[1,0,0]
	s_mov_b32 s3, 0x32a5705f
	s_delay_alu instid0(VALU_DEP_2) | instskip(NEXT) | instid1(VALU_DEP_2)
	v_sub_f32_e32 v46, v46, v47
	v_fma_mix_f32 v48, -v21, s3, v48 op_sel_hi:[1,0,0]
	v_cvt_i32_f32_e32 v47, v47
	s_delay_alu instid0(VALU_DEP_2) | instskip(NEXT) | instid1(VALU_DEP_1)
	v_add_f32_e32 v46, v46, v48
	v_exp_f32_e32 v46, v46
	s_waitcnt_depctr 0xfff
	v_ldexp_f32 v46, v46, v47
	s_delay_alu instid0(VALU_DEP_1) | instskip(SKIP_1) | instid1(VALU_DEP_2)
	v_cndmask_b32_e32 v46, 0, v46, vcc_lo
	v_cmp_nlt_f32_e32 vcc_lo, 0x42b17218, v20
	v_cndmask_b32_e32 v20, 0x7f800000, v46, vcc_lo
	s_delay_alu instid0(VALU_DEP_1) | instskip(NEXT) | instid1(VALU_DEP_1)
	v_add_f32_e32 v20, 1.0, v20
	v_div_scale_f32 v46, null, v20, v20, 1.0
	s_delay_alu instid0(VALU_DEP_1) | instskip(SKIP_2) | instid1(VALU_DEP_1)
	v_rcp_f32_e32 v47, v46
	s_waitcnt_depctr 0xfff
	v_fma_f32 v48, -v46, v47, 1.0
	v_fmac_f32_e32 v47, v48, v47
	v_div_scale_f32 v48, vcc_lo, 1.0, v20, 1.0
	s_delay_alu instid0(VALU_DEP_1) | instskip(NEXT) | instid1(VALU_DEP_1)
	v_mul_f32_e32 v49, v48, v47
	v_fma_f32 v50, -v46, v49, v48
	s_delay_alu instid0(VALU_DEP_1) | instskip(NEXT) | instid1(VALU_DEP_1)
	v_fmac_f32_e32 v49, v50, v47
	v_fma_f32 v46, -v46, v49, v48
	s_delay_alu instid0(VALU_DEP_1) | instskip(NEXT) | instid1(VALU_DEP_1)
	v_div_fmas_f32 v46, v46, v47, v49
	v_div_fixup_f32 v20, v46, v20, 1.0
.LBB2_39:
	s_or_b32 exec_lo, exec_lo, s2
	v_lshrrev_b32_e32 v47, 16, v21
	v_dual_mov_b32 v21, 0 :: v_dual_mov_b32 v46, 0
	s_mov_b32 s2, exec_lo
	s_delay_alu instid0(VALU_DEP_2)
	v_cmpx_o_f16_e32 v47, v47
	s_cbranch_execz .LBB2_41
; %bb.40:
	v_cvt_f32_f16_e64 v46, -v47
	s_mov_b32 s3, 0x3fb8aa3b
	s_delay_alu instid0(VALU_DEP_1) | instskip(SKIP_1) | instid1(VALU_DEP_1)
	v_cmp_ngt_f32_e32 vcc_lo, 0xc2ce8ed0, v46
	v_mul_f32_e32 v48, 0x3fb8aa3b, v46
	v_rndne_f32_e32 v49, v48
	v_fma_mix_f32 v50, -v47, s3, -v48 op_sel_hi:[1,0,0]
	s_mov_b32 s3, 0x32a5705f
	s_delay_alu instid0(VALU_DEP_2) | instskip(NEXT) | instid1(VALU_DEP_2)
	v_sub_f32_e32 v48, v48, v49
	v_fma_mix_f32 v47, -v47, s3, v50 op_sel_hi:[1,0,0]
	s_delay_alu instid0(VALU_DEP_1) | instskip(SKIP_1) | instid1(VALU_DEP_2)
	v_add_f32_e32 v47, v48, v47
	v_cvt_i32_f32_e32 v48, v49
	v_exp_f32_e32 v47, v47
	s_waitcnt_depctr 0xfff
	v_ldexp_f32 v47, v47, v48
	s_delay_alu instid0(VALU_DEP_1) | instskip(SKIP_1) | instid1(VALU_DEP_2)
	v_cndmask_b32_e32 v47, 0, v47, vcc_lo
	v_cmp_nlt_f32_e32 vcc_lo, 0x42b17218, v46
	v_cndmask_b32_e32 v46, 0x7f800000, v47, vcc_lo
	s_delay_alu instid0(VALU_DEP_1) | instskip(NEXT) | instid1(VALU_DEP_1)
	v_add_f32_e32 v46, 1.0, v46
	v_div_scale_f32 v47, null, v46, v46, 1.0
	s_delay_alu instid0(VALU_DEP_1) | instskip(SKIP_2) | instid1(VALU_DEP_1)
	v_rcp_f32_e32 v48, v47
	s_waitcnt_depctr 0xfff
	v_fma_f32 v49, -v47, v48, 1.0
	v_fmac_f32_e32 v48, v49, v48
	v_div_scale_f32 v49, vcc_lo, 1.0, v46, 1.0
	s_delay_alu instid0(VALU_DEP_1) | instskip(NEXT) | instid1(VALU_DEP_1)
	v_mul_f32_e32 v50, v49, v48
	v_fma_f32 v51, -v47, v50, v49
	s_delay_alu instid0(VALU_DEP_1) | instskip(NEXT) | instid1(VALU_DEP_1)
	v_fmac_f32_e32 v50, v51, v48
	v_fma_f32 v47, -v47, v50, v49
	s_delay_alu instid0(VALU_DEP_1) | instskip(NEXT) | instid1(VALU_DEP_1)
	v_div_fmas_f32 v47, v47, v48, v50
	v_div_fixup_f32 v46, v47, v46, 1.0
.LBB2_41:
	s_or_b32 exec_lo, exec_lo, s2
	s_delay_alu instid0(SALU_CYCLE_1)
	s_mov_b32 s2, exec_lo
	v_cmpx_o_f16_e32 v22, v22
	s_cbranch_execz .LBB2_43
; %bb.42:
	v_cvt_f32_f16_e64 v21, -v22
	s_mov_b32 s3, 0x3fb8aa3b
	s_delay_alu instid0(VALU_DEP_1) | instskip(SKIP_1) | instid1(VALU_DEP_2)
	v_mul_f32_e32 v47, 0x3fb8aa3b, v21
	v_cmp_ngt_f32_e32 vcc_lo, 0xc2ce8ed0, v21
	v_rndne_f32_e32 v48, v47
	v_fma_mix_f32 v49, -v22, s3, -v47 op_sel_hi:[1,0,0]
	s_mov_b32 s3, 0x32a5705f
	s_delay_alu instid0(VALU_DEP_2) | instskip(NEXT) | instid1(VALU_DEP_2)
	v_sub_f32_e32 v47, v47, v48
	v_fma_mix_f32 v49, -v22, s3, v49 op_sel_hi:[1,0,0]
	v_cvt_i32_f32_e32 v48, v48
	s_delay_alu instid0(VALU_DEP_2) | instskip(NEXT) | instid1(VALU_DEP_1)
	v_add_f32_e32 v47, v47, v49
	v_exp_f32_e32 v47, v47
	s_waitcnt_depctr 0xfff
	v_ldexp_f32 v47, v47, v48
	s_delay_alu instid0(VALU_DEP_1) | instskip(SKIP_1) | instid1(VALU_DEP_2)
	v_cndmask_b32_e32 v47, 0, v47, vcc_lo
	v_cmp_nlt_f32_e32 vcc_lo, 0x42b17218, v21
	v_cndmask_b32_e32 v21, 0x7f800000, v47, vcc_lo
	s_delay_alu instid0(VALU_DEP_1) | instskip(NEXT) | instid1(VALU_DEP_1)
	v_add_f32_e32 v21, 1.0, v21
	v_div_scale_f32 v47, null, v21, v21, 1.0
	s_delay_alu instid0(VALU_DEP_1) | instskip(SKIP_2) | instid1(VALU_DEP_1)
	v_rcp_f32_e32 v48, v47
	s_waitcnt_depctr 0xfff
	v_fma_f32 v49, -v47, v48, 1.0
	v_fmac_f32_e32 v48, v49, v48
	v_div_scale_f32 v49, vcc_lo, 1.0, v21, 1.0
	s_delay_alu instid0(VALU_DEP_1) | instskip(NEXT) | instid1(VALU_DEP_1)
	v_mul_f32_e32 v50, v49, v48
	v_fma_f32 v51, -v47, v50, v49
	s_delay_alu instid0(VALU_DEP_1) | instskip(NEXT) | instid1(VALU_DEP_1)
	v_fmac_f32_e32 v50, v51, v48
	v_fma_f32 v47, -v47, v50, v49
	s_delay_alu instid0(VALU_DEP_1) | instskip(NEXT) | instid1(VALU_DEP_1)
	v_div_fmas_f32 v47, v47, v48, v50
	v_div_fixup_f32 v21, v47, v21, 1.0
.LBB2_43:
	s_or_b32 exec_lo, exec_lo, s2
	v_lshrrev_b32_e32 v48, 16, v22
	v_dual_mov_b32 v22, 0 :: v_dual_mov_b32 v47, 0
	s_mov_b32 s2, exec_lo
	s_delay_alu instid0(VALU_DEP_2)
	v_cmpx_o_f16_e32 v48, v48
	s_cbranch_execz .LBB2_45
; %bb.44:
	v_cvt_f32_f16_e64 v47, -v48
	s_mov_b32 s3, 0x3fb8aa3b
	s_delay_alu instid0(VALU_DEP_1) | instskip(SKIP_1) | instid1(VALU_DEP_1)
	v_cmp_ngt_f32_e32 vcc_lo, 0xc2ce8ed0, v47
	v_mul_f32_e32 v49, 0x3fb8aa3b, v47
	v_rndne_f32_e32 v50, v49
	v_fma_mix_f32 v51, -v48, s3, -v49 op_sel_hi:[1,0,0]
	s_mov_b32 s3, 0x32a5705f
	s_delay_alu instid0(VALU_DEP_2) | instskip(NEXT) | instid1(VALU_DEP_2)
	v_sub_f32_e32 v49, v49, v50
	v_fma_mix_f32 v48, -v48, s3, v51 op_sel_hi:[1,0,0]
	s_delay_alu instid0(VALU_DEP_1) | instskip(SKIP_1) | instid1(VALU_DEP_2)
	v_add_f32_e32 v48, v49, v48
	v_cvt_i32_f32_e32 v49, v50
	v_exp_f32_e32 v48, v48
	s_waitcnt_depctr 0xfff
	v_ldexp_f32 v48, v48, v49
	s_delay_alu instid0(VALU_DEP_1) | instskip(SKIP_1) | instid1(VALU_DEP_2)
	v_cndmask_b32_e32 v48, 0, v48, vcc_lo
	v_cmp_nlt_f32_e32 vcc_lo, 0x42b17218, v47
	v_cndmask_b32_e32 v47, 0x7f800000, v48, vcc_lo
	s_delay_alu instid0(VALU_DEP_1) | instskip(NEXT) | instid1(VALU_DEP_1)
	v_add_f32_e32 v47, 1.0, v47
	v_div_scale_f32 v48, null, v47, v47, 1.0
	s_delay_alu instid0(VALU_DEP_1) | instskip(SKIP_2) | instid1(VALU_DEP_1)
	v_rcp_f32_e32 v49, v48
	s_waitcnt_depctr 0xfff
	v_fma_f32 v50, -v48, v49, 1.0
	v_fmac_f32_e32 v49, v50, v49
	v_div_scale_f32 v50, vcc_lo, 1.0, v47, 1.0
	s_delay_alu instid0(VALU_DEP_1) | instskip(NEXT) | instid1(VALU_DEP_1)
	v_mul_f32_e32 v51, v50, v49
	v_fma_f32 v52, -v48, v51, v50
	s_delay_alu instid0(VALU_DEP_1) | instskip(NEXT) | instid1(VALU_DEP_1)
	v_fmac_f32_e32 v51, v52, v49
	v_fma_f32 v48, -v48, v51, v50
	s_delay_alu instid0(VALU_DEP_1) | instskip(NEXT) | instid1(VALU_DEP_1)
	v_div_fmas_f32 v48, v48, v49, v51
	v_div_fixup_f32 v47, v48, v47, 1.0
.LBB2_45:
	s_or_b32 exec_lo, exec_lo, s2
	s_delay_alu instid0(SALU_CYCLE_1)
	s_mov_b32 s2, exec_lo
	v_cmpx_o_f16_e32 v23, v23
	s_cbranch_execz .LBB2_47
; %bb.46:
	v_cvt_f32_f16_e64 v22, -v23
	s_mov_b32 s3, 0x3fb8aa3b
	s_delay_alu instid0(VALU_DEP_1) | instskip(SKIP_1) | instid1(VALU_DEP_2)
	v_mul_f32_e32 v48, 0x3fb8aa3b, v22
	v_cmp_ngt_f32_e32 vcc_lo, 0xc2ce8ed0, v22
	v_rndne_f32_e32 v49, v48
	v_fma_mix_f32 v50, -v23, s3, -v48 op_sel_hi:[1,0,0]
	s_mov_b32 s3, 0x32a5705f
	s_delay_alu instid0(VALU_DEP_2) | instskip(NEXT) | instid1(VALU_DEP_2)
	v_sub_f32_e32 v48, v48, v49
	v_fma_mix_f32 v50, -v23, s3, v50 op_sel_hi:[1,0,0]
	v_cvt_i32_f32_e32 v49, v49
	s_delay_alu instid0(VALU_DEP_2) | instskip(NEXT) | instid1(VALU_DEP_1)
	v_add_f32_e32 v48, v48, v50
	v_exp_f32_e32 v48, v48
	s_waitcnt_depctr 0xfff
	v_ldexp_f32 v48, v48, v49
	s_delay_alu instid0(VALU_DEP_1) | instskip(SKIP_1) | instid1(VALU_DEP_2)
	v_cndmask_b32_e32 v48, 0, v48, vcc_lo
	v_cmp_nlt_f32_e32 vcc_lo, 0x42b17218, v22
	v_cndmask_b32_e32 v22, 0x7f800000, v48, vcc_lo
	s_delay_alu instid0(VALU_DEP_1) | instskip(NEXT) | instid1(VALU_DEP_1)
	v_add_f32_e32 v22, 1.0, v22
	v_div_scale_f32 v48, null, v22, v22, 1.0
	s_delay_alu instid0(VALU_DEP_1) | instskip(SKIP_2) | instid1(VALU_DEP_1)
	v_rcp_f32_e32 v49, v48
	s_waitcnt_depctr 0xfff
	v_fma_f32 v50, -v48, v49, 1.0
	v_fmac_f32_e32 v49, v50, v49
	v_div_scale_f32 v50, vcc_lo, 1.0, v22, 1.0
	s_delay_alu instid0(VALU_DEP_1) | instskip(NEXT) | instid1(VALU_DEP_1)
	v_mul_f32_e32 v51, v50, v49
	v_fma_f32 v52, -v48, v51, v50
	s_delay_alu instid0(VALU_DEP_1) | instskip(NEXT) | instid1(VALU_DEP_1)
	v_fmac_f32_e32 v51, v52, v49
	v_fma_f32 v48, -v48, v51, v50
	s_delay_alu instid0(VALU_DEP_1) | instskip(NEXT) | instid1(VALU_DEP_1)
	v_div_fmas_f32 v48, v48, v49, v51
	v_div_fixup_f32 v22, v48, v22, 1.0
.LBB2_47:
	s_or_b32 exec_lo, exec_lo, s2
	v_lshrrev_b32_e32 v49, 16, v23
	v_dual_mov_b32 v23, 0 :: v_dual_mov_b32 v48, 0
	s_mov_b32 s2, exec_lo
	s_delay_alu instid0(VALU_DEP_2)
	v_cmpx_o_f16_e32 v49, v49
	s_cbranch_execz .LBB2_49
; %bb.48:
	v_cvt_f32_f16_e64 v48, -v49
	s_mov_b32 s3, 0x3fb8aa3b
	s_delay_alu instid0(VALU_DEP_1) | instskip(SKIP_1) | instid1(VALU_DEP_1)
	v_cmp_ngt_f32_e32 vcc_lo, 0xc2ce8ed0, v48
	v_mul_f32_e32 v50, 0x3fb8aa3b, v48
	v_rndne_f32_e32 v51, v50
	v_fma_mix_f32 v52, -v49, s3, -v50 op_sel_hi:[1,0,0]
	s_mov_b32 s3, 0x32a5705f
	s_delay_alu instid0(VALU_DEP_2) | instskip(NEXT) | instid1(VALU_DEP_2)
	v_sub_f32_e32 v50, v50, v51
	v_fma_mix_f32 v49, -v49, s3, v52 op_sel_hi:[1,0,0]
	s_delay_alu instid0(VALU_DEP_1) | instskip(SKIP_1) | instid1(VALU_DEP_2)
	v_add_f32_e32 v49, v50, v49
	v_cvt_i32_f32_e32 v50, v51
	v_exp_f32_e32 v49, v49
	s_waitcnt_depctr 0xfff
	v_ldexp_f32 v49, v49, v50
	s_delay_alu instid0(VALU_DEP_1) | instskip(SKIP_1) | instid1(VALU_DEP_2)
	v_cndmask_b32_e32 v49, 0, v49, vcc_lo
	v_cmp_nlt_f32_e32 vcc_lo, 0x42b17218, v48
	v_cndmask_b32_e32 v48, 0x7f800000, v49, vcc_lo
	s_delay_alu instid0(VALU_DEP_1) | instskip(NEXT) | instid1(VALU_DEP_1)
	v_add_f32_e32 v48, 1.0, v48
	v_div_scale_f32 v49, null, v48, v48, 1.0
	s_delay_alu instid0(VALU_DEP_1) | instskip(SKIP_2) | instid1(VALU_DEP_1)
	v_rcp_f32_e32 v50, v49
	s_waitcnt_depctr 0xfff
	v_fma_f32 v51, -v49, v50, 1.0
	v_fmac_f32_e32 v50, v51, v50
	v_div_scale_f32 v51, vcc_lo, 1.0, v48, 1.0
	s_delay_alu instid0(VALU_DEP_1) | instskip(NEXT) | instid1(VALU_DEP_1)
	v_mul_f32_e32 v52, v51, v50
	v_fma_f32 v53, -v49, v52, v51
	s_delay_alu instid0(VALU_DEP_1) | instskip(NEXT) | instid1(VALU_DEP_1)
	v_fmac_f32_e32 v52, v53, v50
	v_fma_f32 v49, -v49, v52, v51
	s_delay_alu instid0(VALU_DEP_1) | instskip(NEXT) | instid1(VALU_DEP_1)
	v_div_fmas_f32 v49, v49, v50, v52
	v_div_fixup_f32 v48, v49, v48, 1.0
.LBB2_49:
	s_or_b32 exec_lo, exec_lo, s2
	s_delay_alu instid0(SALU_CYCLE_1)
	s_mov_b32 s2, exec_lo
	v_cmpx_o_f16_e32 v16, v16
	s_cbranch_execz .LBB2_51
; %bb.50:
	v_cvt_f32_f16_e64 v23, -v16
	s_mov_b32 s3, 0x3fb8aa3b
	s_delay_alu instid0(VALU_DEP_1) | instskip(SKIP_1) | instid1(VALU_DEP_2)
	v_mul_f32_e32 v49, 0x3fb8aa3b, v23
	v_cmp_ngt_f32_e32 vcc_lo, 0xc2ce8ed0, v23
	v_rndne_f32_e32 v50, v49
	v_fma_mix_f32 v51, -v16, s3, -v49 op_sel_hi:[1,0,0]
	s_mov_b32 s3, 0x32a5705f
	s_delay_alu instid0(VALU_DEP_2) | instskip(NEXT) | instid1(VALU_DEP_2)
	v_sub_f32_e32 v49, v49, v50
	v_fma_mix_f32 v51, -v16, s3, v51 op_sel_hi:[1,0,0]
	v_cvt_i32_f32_e32 v50, v50
	s_delay_alu instid0(VALU_DEP_2) | instskip(NEXT) | instid1(VALU_DEP_1)
	v_add_f32_e32 v49, v49, v51
	v_exp_f32_e32 v49, v49
	s_waitcnt_depctr 0xfff
	v_ldexp_f32 v49, v49, v50
	s_delay_alu instid0(VALU_DEP_1) | instskip(SKIP_1) | instid1(VALU_DEP_2)
	v_cndmask_b32_e32 v49, 0, v49, vcc_lo
	v_cmp_nlt_f32_e32 vcc_lo, 0x42b17218, v23
	v_cndmask_b32_e32 v23, 0x7f800000, v49, vcc_lo
	s_delay_alu instid0(VALU_DEP_1) | instskip(NEXT) | instid1(VALU_DEP_1)
	v_add_f32_e32 v23, 1.0, v23
	v_div_scale_f32 v49, null, v23, v23, 1.0
	s_delay_alu instid0(VALU_DEP_1) | instskip(SKIP_2) | instid1(VALU_DEP_1)
	v_rcp_f32_e32 v50, v49
	s_waitcnt_depctr 0xfff
	v_fma_f32 v51, -v49, v50, 1.0
	v_fmac_f32_e32 v50, v51, v50
	v_div_scale_f32 v51, vcc_lo, 1.0, v23, 1.0
	s_delay_alu instid0(VALU_DEP_1) | instskip(NEXT) | instid1(VALU_DEP_1)
	v_mul_f32_e32 v52, v51, v50
	v_fma_f32 v53, -v49, v52, v51
	s_delay_alu instid0(VALU_DEP_1) | instskip(NEXT) | instid1(VALU_DEP_1)
	v_fmac_f32_e32 v52, v53, v50
	v_fma_f32 v49, -v49, v52, v51
	s_delay_alu instid0(VALU_DEP_1) | instskip(NEXT) | instid1(VALU_DEP_1)
	v_div_fmas_f32 v49, v49, v50, v52
	v_div_fixup_f32 v23, v49, v23, 1.0
.LBB2_51:
	s_or_b32 exec_lo, exec_lo, s2
	v_lshrrev_b32_e32 v50, 16, v16
	v_dual_mov_b32 v16, 0 :: v_dual_mov_b32 v49, 0
	s_mov_b32 s2, exec_lo
	s_delay_alu instid0(VALU_DEP_2)
	v_cmpx_o_f16_e32 v50, v50
	s_cbranch_execz .LBB2_53
; %bb.52:
	v_cvt_f32_f16_e64 v49, -v50
	s_mov_b32 s3, 0x3fb8aa3b
	s_delay_alu instid0(VALU_DEP_1) | instskip(SKIP_1) | instid1(VALU_DEP_1)
	v_cmp_ngt_f32_e32 vcc_lo, 0xc2ce8ed0, v49
	v_mul_f32_e32 v51, 0x3fb8aa3b, v49
	v_rndne_f32_e32 v52, v51
	v_fma_mix_f32 v53, -v50, s3, -v51 op_sel_hi:[1,0,0]
	s_mov_b32 s3, 0x32a5705f
	s_delay_alu instid0(VALU_DEP_2) | instskip(NEXT) | instid1(VALU_DEP_2)
	v_sub_f32_e32 v51, v51, v52
	v_fma_mix_f32 v50, -v50, s3, v53 op_sel_hi:[1,0,0]
	s_delay_alu instid0(VALU_DEP_1) | instskip(SKIP_1) | instid1(VALU_DEP_2)
	v_add_f32_e32 v50, v51, v50
	v_cvt_i32_f32_e32 v51, v52
	v_exp_f32_e32 v50, v50
	s_waitcnt_depctr 0xfff
	v_ldexp_f32 v50, v50, v51
	s_delay_alu instid0(VALU_DEP_1) | instskip(SKIP_1) | instid1(VALU_DEP_2)
	v_cndmask_b32_e32 v50, 0, v50, vcc_lo
	v_cmp_nlt_f32_e32 vcc_lo, 0x42b17218, v49
	v_cndmask_b32_e32 v49, 0x7f800000, v50, vcc_lo
	s_delay_alu instid0(VALU_DEP_1) | instskip(NEXT) | instid1(VALU_DEP_1)
	v_add_f32_e32 v49, 1.0, v49
	v_div_scale_f32 v50, null, v49, v49, 1.0
	s_delay_alu instid0(VALU_DEP_1) | instskip(SKIP_2) | instid1(VALU_DEP_1)
	v_rcp_f32_e32 v51, v50
	s_waitcnt_depctr 0xfff
	v_fma_f32 v52, -v50, v51, 1.0
	v_fmac_f32_e32 v51, v52, v51
	v_div_scale_f32 v52, vcc_lo, 1.0, v49, 1.0
	s_delay_alu instid0(VALU_DEP_1) | instskip(NEXT) | instid1(VALU_DEP_1)
	v_mul_f32_e32 v53, v52, v51
	v_fma_f32 v54, -v50, v53, v52
	s_delay_alu instid0(VALU_DEP_1) | instskip(NEXT) | instid1(VALU_DEP_1)
	v_fmac_f32_e32 v53, v54, v51
	v_fma_f32 v50, -v50, v53, v52
	s_delay_alu instid0(VALU_DEP_1) | instskip(NEXT) | instid1(VALU_DEP_1)
	v_div_fmas_f32 v50, v50, v51, v53
	v_div_fixup_f32 v49, v50, v49, 1.0
.LBB2_53:
	s_or_b32 exec_lo, exec_lo, s2
	s_delay_alu instid0(SALU_CYCLE_1)
	s_mov_b32 s2, exec_lo
	v_cmpx_o_f16_e32 v17, v17
	s_cbranch_execz .LBB2_55
; %bb.54:
	v_cvt_f32_f16_e64 v16, -v17
	s_mov_b32 s3, 0x3fb8aa3b
	s_delay_alu instid0(VALU_DEP_1) | instskip(SKIP_1) | instid1(VALU_DEP_2)
	v_mul_f32_e32 v50, 0x3fb8aa3b, v16
	v_cmp_ngt_f32_e32 vcc_lo, 0xc2ce8ed0, v16
	v_rndne_f32_e32 v51, v50
	v_fma_mix_f32 v52, -v17, s3, -v50 op_sel_hi:[1,0,0]
	s_mov_b32 s3, 0x32a5705f
	s_delay_alu instid0(VALU_DEP_2) | instskip(NEXT) | instid1(VALU_DEP_2)
	v_sub_f32_e32 v50, v50, v51
	v_fma_mix_f32 v52, -v17, s3, v52 op_sel_hi:[1,0,0]
	v_cvt_i32_f32_e32 v51, v51
	s_delay_alu instid0(VALU_DEP_2) | instskip(NEXT) | instid1(VALU_DEP_1)
	v_add_f32_e32 v50, v50, v52
	v_exp_f32_e32 v50, v50
	s_waitcnt_depctr 0xfff
	v_ldexp_f32 v50, v50, v51
	s_delay_alu instid0(VALU_DEP_1) | instskip(SKIP_1) | instid1(VALU_DEP_2)
	v_cndmask_b32_e32 v50, 0, v50, vcc_lo
	v_cmp_nlt_f32_e32 vcc_lo, 0x42b17218, v16
	v_cndmask_b32_e32 v16, 0x7f800000, v50, vcc_lo
	s_delay_alu instid0(VALU_DEP_1) | instskip(NEXT) | instid1(VALU_DEP_1)
	v_add_f32_e32 v16, 1.0, v16
	v_div_scale_f32 v50, null, v16, v16, 1.0
	s_delay_alu instid0(VALU_DEP_1) | instskip(SKIP_2) | instid1(VALU_DEP_1)
	v_rcp_f32_e32 v51, v50
	s_waitcnt_depctr 0xfff
	v_fma_f32 v52, -v50, v51, 1.0
	v_fmac_f32_e32 v51, v52, v51
	v_div_scale_f32 v52, vcc_lo, 1.0, v16, 1.0
	s_delay_alu instid0(VALU_DEP_1) | instskip(NEXT) | instid1(VALU_DEP_1)
	v_mul_f32_e32 v53, v52, v51
	v_fma_f32 v54, -v50, v53, v52
	s_delay_alu instid0(VALU_DEP_1) | instskip(NEXT) | instid1(VALU_DEP_1)
	v_fmac_f32_e32 v53, v54, v51
	v_fma_f32 v50, -v50, v53, v52
	s_delay_alu instid0(VALU_DEP_1) | instskip(NEXT) | instid1(VALU_DEP_1)
	v_div_fmas_f32 v50, v50, v51, v53
	v_div_fixup_f32 v16, v50, v16, 1.0
.LBB2_55:
	s_or_b32 exec_lo, exec_lo, s2
	v_lshrrev_b32_e32 v51, 16, v17
	v_dual_mov_b32 v17, 0 :: v_dual_mov_b32 v50, 0
	s_mov_b32 s2, exec_lo
	s_delay_alu instid0(VALU_DEP_2)
	v_cmpx_o_f16_e32 v51, v51
	s_cbranch_execz .LBB2_57
; %bb.56:
	v_cvt_f32_f16_e64 v50, -v51
	s_mov_b32 s3, 0x3fb8aa3b
	s_delay_alu instid0(VALU_DEP_1) | instskip(SKIP_1) | instid1(VALU_DEP_1)
	v_cmp_ngt_f32_e32 vcc_lo, 0xc2ce8ed0, v50
	v_mul_f32_e32 v52, 0x3fb8aa3b, v50
	v_rndne_f32_e32 v53, v52
	v_fma_mix_f32 v54, -v51, s3, -v52 op_sel_hi:[1,0,0]
	s_mov_b32 s3, 0x32a5705f
	s_delay_alu instid0(VALU_DEP_2) | instskip(NEXT) | instid1(VALU_DEP_2)
	v_sub_f32_e32 v52, v52, v53
	v_fma_mix_f32 v51, -v51, s3, v54 op_sel_hi:[1,0,0]
	s_delay_alu instid0(VALU_DEP_1) | instskip(SKIP_1) | instid1(VALU_DEP_2)
	v_add_f32_e32 v51, v52, v51
	v_cvt_i32_f32_e32 v52, v53
	v_exp_f32_e32 v51, v51
	s_waitcnt_depctr 0xfff
	v_ldexp_f32 v51, v51, v52
	s_delay_alu instid0(VALU_DEP_1) | instskip(SKIP_1) | instid1(VALU_DEP_2)
	v_cndmask_b32_e32 v51, 0, v51, vcc_lo
	v_cmp_nlt_f32_e32 vcc_lo, 0x42b17218, v50
	v_cndmask_b32_e32 v50, 0x7f800000, v51, vcc_lo
	s_delay_alu instid0(VALU_DEP_1) | instskip(NEXT) | instid1(VALU_DEP_1)
	v_add_f32_e32 v50, 1.0, v50
	v_div_scale_f32 v51, null, v50, v50, 1.0
	s_delay_alu instid0(VALU_DEP_1) | instskip(SKIP_2) | instid1(VALU_DEP_1)
	v_rcp_f32_e32 v52, v51
	s_waitcnt_depctr 0xfff
	v_fma_f32 v53, -v51, v52, 1.0
	v_fmac_f32_e32 v52, v53, v52
	v_div_scale_f32 v53, vcc_lo, 1.0, v50, 1.0
	s_delay_alu instid0(VALU_DEP_1) | instskip(NEXT) | instid1(VALU_DEP_1)
	v_mul_f32_e32 v54, v53, v52
	v_fma_f32 v55, -v51, v54, v53
	s_delay_alu instid0(VALU_DEP_1) | instskip(NEXT) | instid1(VALU_DEP_1)
	v_fmac_f32_e32 v54, v55, v52
	v_fma_f32 v51, -v51, v54, v53
	s_delay_alu instid0(VALU_DEP_1) | instskip(NEXT) | instid1(VALU_DEP_1)
	v_div_fmas_f32 v51, v51, v52, v54
	v_div_fixup_f32 v50, v51, v50, 1.0
.LBB2_57:
	s_or_b32 exec_lo, exec_lo, s2
	s_delay_alu instid0(SALU_CYCLE_1)
	s_mov_b32 s2, exec_lo
	v_cmpx_o_f16_e32 v18, v18
	s_cbranch_execz .LBB2_59
; %bb.58:
	v_cvt_f32_f16_e64 v17, -v18
	s_mov_b32 s3, 0x3fb8aa3b
	s_delay_alu instid0(VALU_DEP_1) | instskip(SKIP_1) | instid1(VALU_DEP_2)
	v_mul_f32_e32 v51, 0x3fb8aa3b, v17
	v_cmp_ngt_f32_e32 vcc_lo, 0xc2ce8ed0, v17
	v_rndne_f32_e32 v52, v51
	v_fma_mix_f32 v53, -v18, s3, -v51 op_sel_hi:[1,0,0]
	s_mov_b32 s3, 0x32a5705f
	s_delay_alu instid0(VALU_DEP_2) | instskip(NEXT) | instid1(VALU_DEP_2)
	v_sub_f32_e32 v51, v51, v52
	v_fma_mix_f32 v53, -v18, s3, v53 op_sel_hi:[1,0,0]
	v_cvt_i32_f32_e32 v52, v52
	s_delay_alu instid0(VALU_DEP_2) | instskip(NEXT) | instid1(VALU_DEP_1)
	v_add_f32_e32 v51, v51, v53
	v_exp_f32_e32 v51, v51
	s_waitcnt_depctr 0xfff
	v_ldexp_f32 v51, v51, v52
	s_delay_alu instid0(VALU_DEP_1) | instskip(SKIP_1) | instid1(VALU_DEP_2)
	v_cndmask_b32_e32 v51, 0, v51, vcc_lo
	v_cmp_nlt_f32_e32 vcc_lo, 0x42b17218, v17
	v_cndmask_b32_e32 v17, 0x7f800000, v51, vcc_lo
	s_delay_alu instid0(VALU_DEP_1) | instskip(NEXT) | instid1(VALU_DEP_1)
	v_add_f32_e32 v17, 1.0, v17
	v_div_scale_f32 v51, null, v17, v17, 1.0
	s_delay_alu instid0(VALU_DEP_1) | instskip(SKIP_2) | instid1(VALU_DEP_1)
	v_rcp_f32_e32 v52, v51
	s_waitcnt_depctr 0xfff
	v_fma_f32 v53, -v51, v52, 1.0
	v_fmac_f32_e32 v52, v53, v52
	v_div_scale_f32 v53, vcc_lo, 1.0, v17, 1.0
	s_delay_alu instid0(VALU_DEP_1) | instskip(NEXT) | instid1(VALU_DEP_1)
	v_mul_f32_e32 v54, v53, v52
	v_fma_f32 v55, -v51, v54, v53
	s_delay_alu instid0(VALU_DEP_1) | instskip(NEXT) | instid1(VALU_DEP_1)
	v_fmac_f32_e32 v54, v55, v52
	v_fma_f32 v51, -v51, v54, v53
	s_delay_alu instid0(VALU_DEP_1) | instskip(NEXT) | instid1(VALU_DEP_1)
	v_div_fmas_f32 v51, v51, v52, v54
	v_div_fixup_f32 v17, v51, v17, 1.0
.LBB2_59:
	s_or_b32 exec_lo, exec_lo, s2
	v_lshrrev_b32_e32 v52, 16, v18
	v_dual_mov_b32 v18, 0 :: v_dual_mov_b32 v51, 0
	s_mov_b32 s2, exec_lo
	s_delay_alu instid0(VALU_DEP_2)
	v_cmpx_o_f16_e32 v52, v52
	s_cbranch_execz .LBB2_61
; %bb.60:
	v_cvt_f32_f16_e64 v51, -v52
	s_mov_b32 s3, 0x3fb8aa3b
	s_delay_alu instid0(VALU_DEP_1) | instskip(SKIP_1) | instid1(VALU_DEP_1)
	v_cmp_ngt_f32_e32 vcc_lo, 0xc2ce8ed0, v51
	v_mul_f32_e32 v53, 0x3fb8aa3b, v51
	v_rndne_f32_e32 v54, v53
	v_fma_mix_f32 v55, -v52, s3, -v53 op_sel_hi:[1,0,0]
	s_mov_b32 s3, 0x32a5705f
	s_delay_alu instid0(VALU_DEP_2) | instskip(NEXT) | instid1(VALU_DEP_2)
	v_sub_f32_e32 v53, v53, v54
	v_fma_mix_f32 v52, -v52, s3, v55 op_sel_hi:[1,0,0]
	s_delay_alu instid0(VALU_DEP_1) | instskip(SKIP_1) | instid1(VALU_DEP_2)
	v_add_f32_e32 v52, v53, v52
	v_cvt_i32_f32_e32 v53, v54
	v_exp_f32_e32 v52, v52
	s_waitcnt_depctr 0xfff
	v_ldexp_f32 v52, v52, v53
	s_delay_alu instid0(VALU_DEP_1) | instskip(SKIP_1) | instid1(VALU_DEP_2)
	v_cndmask_b32_e32 v52, 0, v52, vcc_lo
	v_cmp_nlt_f32_e32 vcc_lo, 0x42b17218, v51
	v_cndmask_b32_e32 v51, 0x7f800000, v52, vcc_lo
	s_delay_alu instid0(VALU_DEP_1) | instskip(NEXT) | instid1(VALU_DEP_1)
	v_add_f32_e32 v51, 1.0, v51
	v_div_scale_f32 v52, null, v51, v51, 1.0
	s_delay_alu instid0(VALU_DEP_1) | instskip(SKIP_2) | instid1(VALU_DEP_1)
	v_rcp_f32_e32 v53, v52
	s_waitcnt_depctr 0xfff
	v_fma_f32 v54, -v52, v53, 1.0
	v_fmac_f32_e32 v53, v54, v53
	v_div_scale_f32 v54, vcc_lo, 1.0, v51, 1.0
	s_delay_alu instid0(VALU_DEP_1) | instskip(NEXT) | instid1(VALU_DEP_1)
	v_mul_f32_e32 v55, v54, v53
	v_fma_f32 v56, -v52, v55, v54
	s_delay_alu instid0(VALU_DEP_1) | instskip(NEXT) | instid1(VALU_DEP_1)
	v_fmac_f32_e32 v55, v56, v53
	v_fma_f32 v52, -v52, v55, v54
	s_delay_alu instid0(VALU_DEP_1) | instskip(NEXT) | instid1(VALU_DEP_1)
	v_div_fmas_f32 v52, v52, v53, v55
	v_div_fixup_f32 v51, v52, v51, 1.0
.LBB2_61:
	s_or_b32 exec_lo, exec_lo, s2
	s_delay_alu instid0(SALU_CYCLE_1)
	s_mov_b32 s2, exec_lo
	v_cmpx_o_f16_e32 v19, v19
	s_cbranch_execz .LBB2_63
; %bb.62:
	v_cvt_f32_f16_e64 v18, -v19
	s_mov_b32 s3, 0x3fb8aa3b
	s_delay_alu instid0(VALU_DEP_1) | instskip(SKIP_1) | instid1(VALU_DEP_2)
	v_mul_f32_e32 v52, 0x3fb8aa3b, v18
	v_cmp_ngt_f32_e32 vcc_lo, 0xc2ce8ed0, v18
	v_rndne_f32_e32 v53, v52
	v_fma_mix_f32 v54, -v19, s3, -v52 op_sel_hi:[1,0,0]
	s_mov_b32 s3, 0x32a5705f
	s_delay_alu instid0(VALU_DEP_2) | instskip(NEXT) | instid1(VALU_DEP_2)
	v_sub_f32_e32 v52, v52, v53
	v_fma_mix_f32 v54, -v19, s3, v54 op_sel_hi:[1,0,0]
	v_cvt_i32_f32_e32 v53, v53
	s_delay_alu instid0(VALU_DEP_2) | instskip(NEXT) | instid1(VALU_DEP_1)
	v_add_f32_e32 v52, v52, v54
	v_exp_f32_e32 v52, v52
	s_waitcnt_depctr 0xfff
	v_ldexp_f32 v52, v52, v53
	s_delay_alu instid0(VALU_DEP_1) | instskip(SKIP_1) | instid1(VALU_DEP_2)
	v_cndmask_b32_e32 v52, 0, v52, vcc_lo
	v_cmp_nlt_f32_e32 vcc_lo, 0x42b17218, v18
	v_cndmask_b32_e32 v18, 0x7f800000, v52, vcc_lo
	s_delay_alu instid0(VALU_DEP_1) | instskip(NEXT) | instid1(VALU_DEP_1)
	v_add_f32_e32 v18, 1.0, v18
	v_div_scale_f32 v52, null, v18, v18, 1.0
	s_delay_alu instid0(VALU_DEP_1) | instskip(SKIP_2) | instid1(VALU_DEP_1)
	v_rcp_f32_e32 v53, v52
	s_waitcnt_depctr 0xfff
	v_fma_f32 v54, -v52, v53, 1.0
	v_fmac_f32_e32 v53, v54, v53
	v_div_scale_f32 v54, vcc_lo, 1.0, v18, 1.0
	s_delay_alu instid0(VALU_DEP_1) | instskip(NEXT) | instid1(VALU_DEP_1)
	v_mul_f32_e32 v55, v54, v53
	v_fma_f32 v56, -v52, v55, v54
	s_delay_alu instid0(VALU_DEP_1) | instskip(NEXT) | instid1(VALU_DEP_1)
	v_fmac_f32_e32 v55, v56, v53
	v_fma_f32 v52, -v52, v55, v54
	s_delay_alu instid0(VALU_DEP_1) | instskip(NEXT) | instid1(VALU_DEP_1)
	v_div_fmas_f32 v52, v52, v53, v55
	v_div_fixup_f32 v18, v52, v18, 1.0
.LBB2_63:
	s_or_b32 exec_lo, exec_lo, s2
	v_lshrrev_b32_e32 v52, 16, v19
	v_mov_b32_e32 v19, 0
	s_mov_b32 s2, exec_lo
	s_delay_alu instid0(VALU_DEP_2)
	v_cmpx_o_f16_e32 v52, v52
	s_cbranch_execz .LBB2_65
; %bb.64:
	v_cvt_f32_f16_e64 v19, -v52
	s_mov_b32 s3, 0x3fb8aa3b
	s_delay_alu instid0(VALU_DEP_1) | instskip(SKIP_1) | instid1(VALU_DEP_1)
	v_cmp_ngt_f32_e32 vcc_lo, 0xc2ce8ed0, v19
	v_mul_f32_e32 v53, 0x3fb8aa3b, v19
	v_rndne_f32_e32 v54, v53
	v_fma_mix_f32 v55, -v52, s3, -v53 op_sel_hi:[1,0,0]
	s_mov_b32 s3, 0x32a5705f
	s_delay_alu instid0(VALU_DEP_2) | instskip(NEXT) | instid1(VALU_DEP_2)
	v_sub_f32_e32 v53, v53, v54
	v_fma_mix_f32 v52, -v52, s3, v55 op_sel_hi:[1,0,0]
	s_delay_alu instid0(VALU_DEP_1) | instskip(SKIP_1) | instid1(VALU_DEP_2)
	v_add_f32_e32 v52, v53, v52
	v_cvt_i32_f32_e32 v53, v54
	v_exp_f32_e32 v52, v52
	s_waitcnt_depctr 0xfff
	v_ldexp_f32 v52, v52, v53
	s_delay_alu instid0(VALU_DEP_1) | instskip(SKIP_1) | instid1(VALU_DEP_2)
	v_cndmask_b32_e32 v52, 0, v52, vcc_lo
	v_cmp_nlt_f32_e32 vcc_lo, 0x42b17218, v19
	v_cndmask_b32_e32 v19, 0x7f800000, v52, vcc_lo
	s_delay_alu instid0(VALU_DEP_1) | instskip(NEXT) | instid1(VALU_DEP_1)
	v_add_f32_e32 v19, 1.0, v19
	v_div_scale_f32 v52, null, v19, v19, 1.0
	s_delay_alu instid0(VALU_DEP_1) | instskip(SKIP_2) | instid1(VALU_DEP_1)
	v_rcp_f32_e32 v53, v52
	s_waitcnt_depctr 0xfff
	v_fma_f32 v54, -v52, v53, 1.0
	v_fmac_f32_e32 v53, v54, v53
	v_div_scale_f32 v54, vcc_lo, 1.0, v19, 1.0
	s_delay_alu instid0(VALU_DEP_1) | instskip(NEXT) | instid1(VALU_DEP_1)
	v_mul_f32_e32 v55, v54, v53
	v_fma_f32 v56, -v52, v55, v54
	s_delay_alu instid0(VALU_DEP_1) | instskip(NEXT) | instid1(VALU_DEP_1)
	v_fmac_f32_e32 v55, v56, v53
	v_fma_f32 v52, -v52, v55, v54
	s_delay_alu instid0(VALU_DEP_1) | instskip(NEXT) | instid1(VALU_DEP_1)
	v_div_fmas_f32 v52, v52, v53, v55
	v_div_fixup_f32 v19, v52, v19, 1.0
.LBB2_65:
	s_or_b32 exec_lo, exec_lo, s2
	s_waitcnt vmcnt(0)
	v_lshrrev_b32_e32 v52, 16, v12
	v_cvt_f32_f16_e32 v12, v12
	s_mov_b32 s2, exec_lo
	s_delay_alu instid0(VALU_DEP_2) | instskip(NEXT) | instid1(VALU_DEP_1)
	v_cvt_f32_f16_e32 v52, v52
	v_add_f32_e32 v52, v36, v52
	s_delay_alu instid0(VALU_DEP_1) | instskip(NEXT) | instid1(VALU_DEP_1)
	v_dual_add_f32 v12, v35, v12 :: v_dual_mov_b32 v57, v52
	v_max_f32_e32 v53, 0xff7fffff, v12
	s_delay_alu instid0(VALU_DEP_1)
	v_mov_b32_e32 v54, v53
	v_cmpx_ngt_f32_e32 v52, v53
	s_cbranch_execz .LBB2_69
; %bb.66:
	v_mov_b32_e32 v54, 0xff7fffff
	s_mov_b32 s3, exec_lo
	v_cmpx_lt_f32_e32 0xff7fffff, v52
; %bb.67:
	v_mov_b32_e32 v54, v52
; %bb.68:
	s_or_b32 exec_lo, exec_lo, s3
	v_mov_b32_e32 v57, v53
.LBB2_69:
	s_or_b32 exec_lo, exec_lo, s2
	v_cvt_f32_f16_e32 v53, v13
	s_delay_alu instid0(VALU_DEP_2) | instskip(SKIP_1) | instid1(VALU_DEP_2)
	v_mov_b32_e32 v55, v57
	s_mov_b32 s2, exec_lo
	v_add_f32_e32 v53, v28, v53
	s_delay_alu instid0(VALU_DEP_1)
	v_mov_b32_e32 v56, v53
	v_cmpx_ngt_f32_e32 v53, v57
	s_cbranch_execz .LBB2_73
; %bb.70:
	s_mov_b32 s3, exec_lo
	v_cmpx_gt_f32_e32 v53, v54
; %bb.71:
	v_mov_b32_e32 v54, v53
; %bb.72:
	s_or_b32 exec_lo, exec_lo, s3
	s_delay_alu instid0(VALU_DEP_1)
	v_dual_mov_b32 v55, v54 :: v_dual_mov_b32 v56, v57
.LBB2_73:
	s_or_b32 exec_lo, exec_lo, s2
	v_lshrrev_b32_e32 v13, 16, v13
	s_mov_b32 s2, exec_lo
	s_delay_alu instid0(VALU_DEP_1) | instskip(NEXT) | instid1(VALU_DEP_1)
	v_cvt_f32_f16_e32 v13, v13
	v_add_f32_e32 v13, v37, v13
	s_delay_alu instid0(VALU_DEP_1)
	v_dual_mov_b32 v57, v56 :: v_dual_mov_b32 v58, v13
	v_cmpx_ngt_f32_e32 v13, v56
	s_cbranch_execz .LBB2_77
; %bb.74:
	s_mov_b32 s3, exec_lo
	v_cmpx_gt_f32_e32 v13, v55
; %bb.75:
	v_mov_b32_e32 v55, v13
; %bb.76:
	s_or_b32 exec_lo, exec_lo, s3
	s_delay_alu instid0(VALU_DEP_1)
	v_dual_mov_b32 v57, v55 :: v_dual_mov_b32 v58, v56
.LBB2_77:
	s_or_b32 exec_lo, exec_lo, s2
	v_cvt_f32_f16_e32 v54, v14
	s_mov_b32 s2, exec_lo
	s_delay_alu instid0(VALU_DEP_1) | instskip(NEXT) | instid1(VALU_DEP_1)
	v_dual_mov_b32 v55, v58 :: v_dual_add_f32 v54, v29, v54
	v_mov_b32_e32 v56, v54
	v_cmpx_ngt_f32_e32 v54, v58
	s_cbranch_execz .LBB2_81
; %bb.78:
	s_mov_b32 s3, exec_lo
	v_cmpx_gt_f32_e32 v54, v57
; %bb.79:
	v_mov_b32_e32 v57, v54
; %bb.80:
	s_or_b32 exec_lo, exec_lo, s3
	s_delay_alu instid0(VALU_DEP_1)
	v_dual_mov_b32 v55, v57 :: v_dual_mov_b32 v56, v58
.LBB2_81:
	s_or_b32 exec_lo, exec_lo, s2
	v_lshrrev_b32_e32 v14, 16, v14
	s_mov_b32 s2, exec_lo
	s_delay_alu instid0(VALU_DEP_1) | instskip(NEXT) | instid1(VALU_DEP_1)
	v_cvt_f32_f16_e32 v14, v14
	v_add_f32_e32 v14, v38, v14
	s_delay_alu instid0(VALU_DEP_1)
	v_dual_mov_b32 v58, v56 :: v_dual_mov_b32 v59, v14
	v_cmpx_ngt_f32_e32 v14, v56
	s_cbranch_execz .LBB2_85
; %bb.82:
	s_mov_b32 s3, exec_lo
	v_cmpx_gt_f32_e32 v14, v55
; %bb.83:
	v_mov_b32_e32 v55, v14
; %bb.84:
	s_or_b32 exec_lo, exec_lo, s3
	s_delay_alu instid0(VALU_DEP_1)
	v_dual_mov_b32 v58, v55 :: v_dual_mov_b32 v59, v56
.LBB2_85:
	s_or_b32 exec_lo, exec_lo, s2
	v_cvt_f32_f16_e32 v55, v15
	s_mov_b32 s2, exec_lo
	s_delay_alu instid0(VALU_DEP_1) | instskip(NEXT) | instid1(VALU_DEP_1)
	v_dual_mov_b32 v56, v59 :: v_dual_add_f32 v55, v30, v55
	;; [unrolled: 38-line block ×6, first 2 shown]
	v_mov_b32_e32 v61, v59
	v_cmpx_ngt_f32_e32 v59, v63
	s_cbranch_execz .LBB2_121
; %bb.118:
	s_mov_b32 s3, exec_lo
	v_cmpx_gt_f32_e32 v59, v62
; %bb.119:
	v_mov_b32_e32 v62, v59
; %bb.120:
	s_or_b32 exec_lo, exec_lo, s3
	s_delay_alu instid0(VALU_DEP_1)
	v_dual_mov_b32 v60, v62 :: v_dual_mov_b32 v61, v63
.LBB2_121:
	s_or_b32 exec_lo, exec_lo, s2
	v_lshrrev_b32_e32 v11, 16, v11
	s_mov_b32 s2, exec_lo
	s_delay_alu instid0(VALU_DEP_2) | instskip(NEXT) | instid1(VALU_DEP_2)
	v_mov_b32_e32 v64, v61
	v_cvt_f32_f16_e32 v11, v11
	s_delay_alu instid0(VALU_DEP_1) | instskip(NEXT) | instid1(VALU_DEP_1)
	v_add_f32_e32 v11, v44, v11
	v_mov_b32_e32 v65, v11
	v_cmpx_ngt_f32_e32 v11, v61
	s_cbranch_execz .LBB2_125
; %bb.122:
	s_mov_b32 s3, exec_lo
	v_cmpx_gt_f32_e32 v11, v60
; %bb.123:
	v_mov_b32_e32 v60, v11
; %bb.124:
	s_or_b32 exec_lo, exec_lo, s3
	s_delay_alu instid0(VALU_DEP_1)
	v_dual_mov_b32 v64, v60 :: v_dual_mov_b32 v65, v61
.LBB2_125:
	s_or_b32 exec_lo, exec_lo, s2
	v_cvt_f32_f16_e32 v60, v4
	s_mov_b32 s2, exec_lo
	s_delay_alu instid0(VALU_DEP_1) | instskip(NEXT) | instid1(VALU_DEP_1)
	v_add_f32_e32 v60, v27, v60
	v_dual_mov_b32 v62, v65 :: v_dual_mov_b32 v63, v60
	v_cmpx_ngt_f32_e32 v60, v65
	s_cbranch_execz .LBB2_129
; %bb.126:
	s_mov_b32 s3, exec_lo
	v_cmpx_gt_f32_e32 v60, v64
; %bb.127:
	v_mov_b32_e32 v64, v60
; %bb.128:
	s_or_b32 exec_lo, exec_lo, s3
	s_delay_alu instid0(VALU_DEP_1)
	v_dual_mov_b32 v62, v64 :: v_dual_mov_b32 v63, v65
.LBB2_129:
	s_or_b32 exec_lo, exec_lo, s2
	v_lshrrev_b32_e32 v4, 16, v4
	s_mov_b32 s2, exec_lo
	s_delay_alu instid0(VALU_DEP_1) | instskip(NEXT) | instid1(VALU_DEP_1)
	v_cvt_f32_f16_e32 v4, v4
	v_add_f32_e32 v61, v45, v4
	s_delay_alu instid0(VALU_DEP_1)
	v_dual_mov_b32 v65, v63 :: v_dual_mov_b32 v66, v61
	v_cmpx_ngt_f32_e32 v61, v63
	s_cbranch_execz .LBB2_133
; %bb.130:
	s_mov_b32 s3, exec_lo
	v_cmpx_gt_f32_e32 v61, v62
; %bb.131:
	v_mov_b32_e32 v62, v61
; %bb.132:
	s_or_b32 exec_lo, exec_lo, s3
	s_delay_alu instid0(VALU_DEP_1)
	v_dual_mov_b32 v65, v62 :: v_dual_mov_b32 v66, v63
.LBB2_133:
	s_or_b32 exec_lo, exec_lo, s2
	v_cvt_f32_f16_e32 v4, v5
	s_mov_b32 s2, exec_lo
	s_delay_alu instid0(VALU_DEP_1) | instskip(SKIP_1) | instid1(VALU_DEP_2)
	v_add_f32_e32 v62, v20, v4
	v_mov_b32_e32 v4, v66
	v_mov_b32_e32 v64, v62
	v_cmpx_ngt_f32_e32 v62, v66
	s_cbranch_execz .LBB2_137
; %bb.134:
	s_mov_b32 s3, exec_lo
	v_cmpx_gt_f32_e32 v62, v65
; %bb.135:
	v_mov_b32_e32 v65, v62
; %bb.136:
	s_or_b32 exec_lo, exec_lo, s3
	s_delay_alu instid0(VALU_DEP_1)
	v_mov_b32_e32 v4, v65
	v_mov_b32_e32 v64, v66
.LBB2_137:
	s_or_b32 exec_lo, exec_lo, s2
	v_lshrrev_b32_e32 v5, 16, v5
	s_mov_b32 s2, exec_lo
	s_delay_alu instid0(VALU_DEP_1) | instskip(NEXT) | instid1(VALU_DEP_1)
	v_cvt_f32_f16_e32 v5, v5
	v_add_f32_e32 v63, v46, v5
	s_delay_alu instid0(VALU_DEP_1)
	v_dual_mov_b32 v65, v64 :: v_dual_mov_b32 v66, v63
	v_cmpx_ngt_f32_e32 v63, v64
	s_cbranch_execz .LBB2_141
; %bb.138:
	s_mov_b32 s3, exec_lo
	v_cmpx_gt_f32_e32 v63, v4
; %bb.139:
	v_mov_b32_e32 v4, v63
; %bb.140:
	s_or_b32 exec_lo, exec_lo, s3
	s_delay_alu instid0(VALU_DEP_1)
	v_mov_b32_e32 v65, v4
	v_mov_b32_e32 v66, v64
.LBB2_141:
	s_or_b32 exec_lo, exec_lo, s2
	v_cvt_f32_f16_e32 v4, v6
	s_mov_b32 s2, exec_lo
	s_delay_alu instid0(VALU_DEP_1) | instskip(NEXT) | instid1(VALU_DEP_1)
	v_add_f32_e32 v64, v21, v4
	v_dual_mov_b32 v4, v66 :: v_dual_mov_b32 v5, v64
	v_cmpx_ngt_f32_e32 v64, v66
	s_cbranch_execz .LBB2_145
; %bb.142:
	s_mov_b32 s3, exec_lo
	v_cmpx_gt_f32_e32 v64, v65
; %bb.143:
	v_mov_b32_e32 v65, v64
; %bb.144:
	s_or_b32 exec_lo, exec_lo, s3
	s_delay_alu instid0(VALU_DEP_1)
	v_dual_mov_b32 v4, v65 :: v_dual_mov_b32 v5, v66
.LBB2_145:
	s_or_b32 exec_lo, exec_lo, s2
	v_lshrrev_b32_e32 v6, 16, v6
	s_mov_b32 s2, exec_lo
	s_delay_alu instid0(VALU_DEP_1) | instskip(NEXT) | instid1(VALU_DEP_1)
	v_cvt_f32_f16_e32 v6, v6
	v_add_f32_e32 v6, v47, v6
	s_delay_alu instid0(VALU_DEP_1)
	v_dual_mov_b32 v66, v5 :: v_dual_mov_b32 v67, v6
	v_cmpx_ngt_f32_e32 v6, v5
	s_cbranch_execz .LBB2_149
; %bb.146:
	s_mov_b32 s3, exec_lo
	v_cmpx_gt_f32_e32 v6, v4
; %bb.147:
	v_mov_b32_e32 v4, v6
; %bb.148:
	s_or_b32 exec_lo, exec_lo, s3
	s_delay_alu instid0(VALU_DEP_1)
	v_dual_mov_b32 v66, v4 :: v_dual_mov_b32 v67, v5
.LBB2_149:
	s_or_b32 exec_lo, exec_lo, s2
	v_cvt_f32_f16_e32 v4, v7
	s_mov_b32 s2, exec_lo
	s_delay_alu instid0(VALU_DEP_1) | instskip(NEXT) | instid1(VALU_DEP_1)
	v_dual_add_f32 v65, v22, v4 :: v_dual_mov_b32 v4, v67
	v_mov_b32_e32 v5, v65
	v_cmpx_ngt_f32_e32 v65, v67
	s_cbranch_execz .LBB2_153
; %bb.150:
	s_mov_b32 s3, exec_lo
	v_cmpx_gt_f32_e32 v65, v66
; %bb.151:
	v_mov_b32_e32 v66, v65
; %bb.152:
	s_or_b32 exec_lo, exec_lo, s3
	s_delay_alu instid0(VALU_DEP_1)
	v_dual_mov_b32 v4, v66 :: v_dual_mov_b32 v5, v67
.LBB2_153:
	s_or_b32 exec_lo, exec_lo, s2
	v_lshrrev_b32_e32 v7, 16, v7
	s_mov_b32 s2, exec_lo
	s_delay_alu instid0(VALU_DEP_1) | instskip(NEXT) | instid1(VALU_DEP_1)
	v_cvt_f32_f16_e32 v7, v7
	v_add_f32_e32 v7, v48, v7
	s_delay_alu instid0(VALU_DEP_1)
	v_dual_mov_b32 v67, v5 :: v_dual_mov_b32 v68, v7
	v_cmpx_ngt_f32_e32 v7, v5
	s_cbranch_execz .LBB2_157
; %bb.154:
	s_mov_b32 s3, exec_lo
	v_cmpx_gt_f32_e32 v7, v4
; %bb.155:
	v_mov_b32_e32 v4, v7
; %bb.156:
	s_or_b32 exec_lo, exec_lo, s3
	s_delay_alu instid0(VALU_DEP_1)
	v_dual_mov_b32 v67, v4 :: v_dual_mov_b32 v68, v5
.LBB2_157:
	s_or_b32 exec_lo, exec_lo, s2
	v_cvt_f32_f16_e32 v4, v0
	s_mov_b32 s2, exec_lo
	s_delay_alu instid0(VALU_DEP_1) | instskip(NEXT) | instid1(VALU_DEP_1)
	v_add_f32_e32 v66, v23, v4
	v_dual_mov_b32 v4, v68 :: v_dual_mov_b32 v5, v66
	v_cmpx_ngt_f32_e32 v66, v68
	s_cbranch_execz .LBB2_161
; %bb.158:
	s_mov_b32 s3, exec_lo
	v_cmpx_gt_f32_e32 v66, v67
; %bb.159:
	v_mov_b32_e32 v67, v66
; %bb.160:
	s_or_b32 exec_lo, exec_lo, s3
	s_delay_alu instid0(VALU_DEP_1)
	v_dual_mov_b32 v4, v67 :: v_dual_mov_b32 v5, v68
.LBB2_161:
	s_or_b32 exec_lo, exec_lo, s2
	v_lshrrev_b32_e32 v0, 16, v0
	s_mov_b32 s2, exec_lo
	s_delay_alu instid0(VALU_DEP_1) | instskip(NEXT) | instid1(VALU_DEP_1)
	v_cvt_f32_f16_e32 v0, v0
	v_add_f32_e32 v67, v49, v0
	s_delay_alu instid0(VALU_DEP_1)
	v_dual_mov_b32 v69, v5 :: v_dual_mov_b32 v70, v67
	v_cmpx_ngt_f32_e32 v67, v5
	s_cbranch_execz .LBB2_165
; %bb.162:
	s_mov_b32 s3, exec_lo
	v_cmpx_gt_f32_e32 v67, v4
; %bb.163:
	v_mov_b32_e32 v4, v67
; %bb.164:
	s_or_b32 exec_lo, exec_lo, s3
	s_delay_alu instid0(VALU_DEP_1)
	v_dual_mov_b32 v69, v4 :: v_dual_mov_b32 v70, v5
.LBB2_165:
	s_or_b32 exec_lo, exec_lo, s2
	v_cvt_f32_f16_e32 v0, v1
	s_mov_b32 s2, exec_lo
	s_delay_alu instid0(VALU_DEP_1) | instskip(SKIP_1) | instid1(VALU_DEP_2)
	v_add_f32_e32 v68, v16, v0
	v_mov_b32_e32 v0, v70
	v_mov_b32_e32 v4, v68
	v_cmpx_ngt_f32_e32 v68, v70
	s_cbranch_execz .LBB2_169
; %bb.166:
	s_mov_b32 s3, exec_lo
	v_cmpx_gt_f32_e32 v68, v69
; %bb.167:
	v_mov_b32_e32 v69, v68
; %bb.168:
	s_or_b32 exec_lo, exec_lo, s3
	s_delay_alu instid0(VALU_DEP_1)
	v_mov_b32_e32 v0, v69
	v_mov_b32_e32 v4, v70
.LBB2_169:
	s_or_b32 exec_lo, exec_lo, s2
	v_lshrrev_b32_e32 v1, 16, v1
	s_delay_alu instid0(VALU_DEP_2) | instskip(SKIP_1) | instid1(VALU_DEP_2)
	v_mov_b32_e32 v5, v4
	s_mov_b32 s2, exec_lo
	v_cvt_f32_f16_e32 v1, v1
	s_delay_alu instid0(VALU_DEP_1) | instskip(NEXT) | instid1(VALU_DEP_1)
	v_add_f32_e32 v69, v50, v1
	v_mov_b32_e32 v71, v69
	v_cmpx_ngt_f32_e32 v69, v4
	s_cbranch_execz .LBB2_173
; %bb.170:
	s_mov_b32 s3, exec_lo
	v_cmpx_gt_f32_e32 v69, v0
; %bb.171:
	v_mov_b32_e32 v0, v69
; %bb.172:
	s_or_b32 exec_lo, exec_lo, s3
	s_delay_alu instid0(VALU_DEP_1)
	v_mov_b32_e32 v5, v0
	v_mov_b32_e32 v71, v4
.LBB2_173:
	s_or_b32 exec_lo, exec_lo, s2
	v_cvt_f32_f16_e32 v0, v2
	s_mov_b32 s2, exec_lo
	s_delay_alu instid0(VALU_DEP_1) | instskip(NEXT) | instid1(VALU_DEP_1)
	v_add_f32_e32 v70, v17, v0
	v_dual_mov_b32 v0, v71 :: v_dual_mov_b32 v1, v70
	v_cmpx_ngt_f32_e32 v70, v71
	s_cbranch_execz .LBB2_177
; %bb.174:
	s_mov_b32 s3, exec_lo
	v_cmpx_gt_f32_e32 v70, v5
; %bb.175:
	v_mov_b32_e32 v5, v70
; %bb.176:
	s_or_b32 exec_lo, exec_lo, s3
	s_delay_alu instid0(VALU_DEP_1)
	v_dual_mov_b32 v0, v5 :: v_dual_mov_b32 v1, v71
.LBB2_177:
	s_or_b32 exec_lo, exec_lo, s2
	v_lshrrev_b32_e32 v2, 16, v2
	s_mov_b32 s2, exec_lo
	s_delay_alu instid0(VALU_DEP_1) | instskip(NEXT) | instid1(VALU_DEP_1)
	v_cvt_f32_f16_e32 v2, v2
	v_dual_add_f32 v71, v51, v2 :: v_dual_mov_b32 v2, v1
	s_delay_alu instid0(VALU_DEP_1)
	v_mov_b32_e32 v4, v71
	v_cmpx_ngt_f32_e32 v71, v1
	s_cbranch_execz .LBB2_181
; %bb.178:
	s_mov_b32 s3, exec_lo
	v_cmpx_gt_f32_e32 v71, v0
; %bb.179:
	v_mov_b32_e32 v0, v71
; %bb.180:
	s_or_b32 exec_lo, exec_lo, s3
	s_delay_alu instid0(VALU_DEP_1)
	v_mov_b32_e32 v2, v0
	v_mov_b32_e32 v4, v1
.LBB2_181:
	s_or_b32 exec_lo, exec_lo, s2
	v_cvt_f32_f16_e32 v0, v3
	s_mov_b32 s2, exec_lo
	s_delay_alu instid0(VALU_DEP_1) | instskip(SKIP_1) | instid1(VALU_DEP_2)
	v_add_f32_e32 v72, v18, v0
	v_mov_b32_e32 v0, v4
	v_mov_b32_e32 v1, v72
	v_cmpx_ngt_f32_e32 v72, v4
	s_cbranch_execz .LBB2_185
; %bb.182:
	s_mov_b32 s3, exec_lo
	v_cmpx_gt_f32_e32 v72, v2
; %bb.183:
	v_mov_b32_e32 v2, v72
; %bb.184:
	s_or_b32 exec_lo, exec_lo, s3
	s_delay_alu instid0(VALU_DEP_1)
	v_dual_mov_b32 v0, v2 :: v_dual_mov_b32 v1, v4
.LBB2_185:
	s_or_b32 exec_lo, exec_lo, s2
	v_lshrrev_b32_e32 v2, 16, v3
	s_mov_b32 s2, exec_lo
	s_delay_alu instid0(VALU_DEP_1) | instskip(NEXT) | instid1(VALU_DEP_1)
	v_cvt_f32_f16_e32 v2, v2
	v_dual_add_f32 v73, v19, v2 :: v_dual_mov_b32 v2, v1
	s_delay_alu instid0(VALU_DEP_1)
	v_mov_b32_e32 v3, v73
	v_cmpx_ngt_f32_e32 v73, v1
	s_cbranch_execz .LBB2_189
; %bb.186:
	s_mov_b32 s3, exec_lo
	v_cmpx_gt_f32_e32 v73, v0
; %bb.187:
	v_mov_b32_e32 v0, v73
; %bb.188:
	s_or_b32 exec_lo, exec_lo, s3
	s_delay_alu instid0(VALU_DEP_1)
	v_dual_mov_b32 v2, v0 :: v_dual_mov_b32 v3, v1
.LBB2_189:
	s_or_b32 exec_lo, exec_lo, s2
	v_cmp_lt_i64_e64 s2, s[46:47], 8
	v_lshlrev_b32_e32 v74, 5, v34
	s_delay_alu instid0(VALU_DEP_2)
	s_and_b32 vcc_lo, exec_lo, s2
	s_cbranch_vccz .LBB2_192
; %bb.190:
	v_add_f32_e32 v0, v2, v3
	s_sub_u32 s4, 8, s46
	s_subb_u32 s5, 0, s47
	s_mov_b64 s[6:7], 0
.LBB2_191:                              ; =>This Inner Loop Header: Depth=1
	s_delay_alu instid0(VALU_DEP_1) | instskip(SKIP_1) | instid1(VALU_DEP_2)
	v_mov_b32_dpp v1, v0 quad_perm:[1,0,3,2] row_mask:0xf bank_mask:0xf
	v_mov_b32_dpp v2, v74 quad_perm:[1,0,3,2] row_mask:0xf bank_mask:0xf
	v_cmp_eq_f32_e32 vcc_lo, v0, v1
	s_delay_alu instid0(VALU_DEP_2) | instskip(SKIP_1) | instid1(VALU_DEP_2)
	v_cmp_lt_i32_e64 s2, v74, v2
	v_cmp_lt_f32_e64 s3, v0, v1
	s_and_b32 s2, s2, vcc_lo
	s_delay_alu instid0(VALU_DEP_1) | instid1(SALU_CYCLE_1)
	s_or_b32 vcc_lo, s3, s2
	v_dual_cndmask_b32 v1, v1, v0 :: v_dual_cndmask_b32 v2, v2, v74
	s_delay_alu instid0(VALU_DEP_1) | instskip(NEXT) | instid1(VALU_DEP_2)
	v_mov_b32_dpp v3, v1 quad_perm:[2,3,0,1] row_mask:0xf bank_mask:0xf
	v_mov_b32_dpp v4, v2 quad_perm:[2,3,0,1] row_mask:0xf bank_mask:0xf
	s_delay_alu instid0(VALU_DEP_2) | instskip(NEXT) | instid1(VALU_DEP_2)
	v_cmp_eq_f32_e32 vcc_lo, v1, v3
	v_cmp_lt_i32_e64 s2, v2, v4
	s_delay_alu instid0(VALU_DEP_1) | instskip(SKIP_2) | instid1(VALU_DEP_2)
	s_and_b32 vcc_lo, vcc_lo, s2
	v_cmp_lt_f32_e64 s2, v1, v3
	v_cndmask_b32_e32 v5, v3, v1, vcc_lo
	s_or_b32 vcc_lo, s2, vcc_lo
	s_add_u32 s6, s6, 1
	v_cndmask_b32_e32 v2, v4, v2, vcc_lo
	s_delay_alu instid0(VALU_DEP_2) | instskip(SKIP_1) | instid1(SALU_CYCLE_1)
	v_cndmask_b32_e64 v1, v5, v1, s2
	s_addc_u32 s7, s7, 0
	v_cmp_le_i64_e64 s2, s[4:5], s[6:7]
	s_delay_alu instid0(VALU_DEP_3) | instskip(NEXT) | instid1(VALU_DEP_3)
	v_mov_b32_dpp v3, v2 row_half_mirror row_mask:0xf bank_mask:0xf
	v_mov_b32_dpp v4, v1 row_half_mirror row_mask:0xf bank_mask:0xf
	s_delay_alu instid0(VALU_DEP_2) | instskip(NEXT) | instid1(VALU_DEP_2)
	v_min_i32_e32 v5, v2, v3
	v_cmp_eq_f32_e32 vcc_lo, v1, v4
	s_delay_alu instid0(VALU_DEP_2) | instskip(SKIP_1) | instid1(VALU_DEP_2)
	v_cndmask_b32_e32 v3, v3, v5, vcc_lo
	v_cmp_lt_f32_e32 vcc_lo, v1, v4
	v_cndmask_b32_e32 v1, v3, v2, vcc_lo
	s_delay_alu instid0(VALU_DEP_1) | instskip(NEXT) | instid1(VALU_DEP_1)
	v_ashrrev_i32_e32 v2, 31, v1
	v_lshrrev_b32_e32 v2, 27, v2
	s_delay_alu instid0(VALU_DEP_1) | instskip(NEXT) | instid1(VALU_DEP_1)
	v_add_nc_u32_e32 v1, v1, v2
	v_ashrrev_i32_e32 v1, 5, v1
	s_delay_alu instid0(VALU_DEP_1)
	v_cmp_eq_u32_e32 vcc_lo, v34, v1
	v_cndmask_b32_e64 v12, v12, 0x7f7fffff, vcc_lo
	v_cndmask_b32_e64 v0, v0, 0x7f7fffff, vcc_lo
	s_and_b32 vcc_lo, exec_lo, s2
	s_cbranch_vccz .LBB2_191
.LBB2_192:
	s_sub_u32 s36, s48, s50
	s_subb_u32 s37, s49, s51
	s_mov_b64 s[2:3], src_shared_base
	s_cmp_lg_u32 0, -1
	v_lshlrev_b32_e32 v4, 2, v41
	s_cselect_b32 s2, s3, 0
	s_cselect_b32 s3, 0, 0
	s_load_b32 s35, s[0:1], 0x48
	s_add_u32 s4, s3, 0xff
	s_addc_u32 s3, s2, 0
	s_and_b32 s2, s4, 0xffffff00
	s_delay_alu instid0(SALU_CYCLE_1) | instskip(SKIP_1) | instid1(VALU_DEP_1)
	v_mad_u64_u32 v[0:1], null, v4, s48, s[2:3]
	v_cmp_lt_i64_e64 s2, s[36:37], 1
	s_and_b32 vcc_lo, exec_lo, s2
	s_delay_alu instid0(VALU_DEP_2) | instskip(SKIP_1) | instid1(VALU_DEP_2)
	v_mad_u64_u32 v[2:3], null, v4, s49, v[1:2]
	v_cmp_eq_u32_e64 s2, 0, v34
	v_mov_b32_e32 v1, v2
	s_cbranch_vccnz .LBB2_203
; %bb.193:
	s_waitcnt lgkmcnt(0)
	v_mad_u64_u32 v[2:3], null, s35, v32, 0
	s_ashr_i32 s3, s35, 31
	v_mul_u32_u24_e32 v75, 32, v34
	v_mov_b32_e32 v41, 0
	s_mov_b64 s[38:39], 0
	s_delay_alu instid0(VALU_DEP_3) | instskip(NEXT) | instid1(VALU_DEP_1)
	v_mad_u64_u32 v[4:5], null, s3, v32, v[3:4]
	v_mov_b32_e32 v3, v4
	v_dual_mov_b32 v5, v1 :: v_dual_mov_b32 v4, v0
	s_delay_alu instid0(VALU_DEP_2) | instskip(NEXT) | instid1(VALU_DEP_1)
	v_lshlrev_b64 v[2:3], 2, v[2:3]
	v_add_co_u32 v2, vcc_lo, s42, v2
	s_delay_alu instid0(VALU_DEP_2)
	v_add_co_ci_u32_e32 v3, vcc_lo, s43, v3, vcc_lo
	s_branch .LBB2_195
.LBB2_194:                              ;   in Loop: Header=BB2_195 Depth=1
	s_or_b32 exec_lo, exec_lo, s3
	s_add_u32 s38, s38, 1
	s_addc_u32 s39, s39, 0
	v_add_co_u32 v2, vcc_lo, v2, 4
	v_cmp_le_i64_e64 s3, s[36:37], s[38:39]
	v_add_co_ci_u32_e32 v3, vcc_lo, 0, v3, vcc_lo
	v_add_co_u32 v4, vcc_lo, v4, 4
	v_add_co_ci_u32_e32 v5, vcc_lo, 0, v5, vcc_lo
	s_delay_alu instid0(VALU_DEP_4)
	s_and_b32 vcc_lo, exec_lo, s3
	s_cbranch_vccnz .LBB2_204
.LBB2_195:                              ; =>This Inner Loop Header: Depth=1
	v_dual_mov_b32 v76, 0xff7fffff :: v_dual_mov_b32 v77, v74
	s_mov_b32 s3, exec_lo
	v_cmpx_neq_f32_e32 0x7f7fffff, v12
	s_cbranch_execz .LBB2_197
; %bb.196:                              ;   in Loop: Header=BB2_195 Depth=1
	v_cmp_gt_f32_e32 vcc_lo, v52, v12
	v_cndmask_b32_e32 v76, v12, v52, vcc_lo
	v_cndmask_b32_e64 v77, 0, 1, vcc_lo
	s_delay_alu instid0(VALU_DEP_2) | instskip(SKIP_1) | instid1(VALU_DEP_3)
	v_cmp_gt_f32_e32 vcc_lo, v53, v76
	v_cndmask_b32_e32 v76, v76, v53, vcc_lo
	v_cndmask_b32_e64 v77, v77, 2, vcc_lo
	s_delay_alu instid0(VALU_DEP_2) | instskip(SKIP_1) | instid1(VALU_DEP_3)
	;; [unrolled: 4-line block ×29, first 2 shown]
	v_cmp_gt_f32_e32 vcc_lo, v72, v76
	v_cndmask_b32_e32 v76, v76, v72, vcc_lo
	v_cndmask_b32_e64 v77, v77, 30, vcc_lo
	s_delay_alu instid0(VALU_DEP_2) | instskip(NEXT) | instid1(VALU_DEP_2)
	v_cmp_gt_f32_e32 vcc_lo, v73, v76
	v_cndmask_b32_e64 v77, v77, 31, vcc_lo
	v_cndmask_b32_e32 v76, v76, v73, vcc_lo
	s_delay_alu instid0(VALU_DEP_2)
	v_or_b32_e32 v77, v77, v74
.LBB2_197:                              ;   in Loop: Header=BB2_195 Depth=1
	s_or_b32 exec_lo, exec_lo, s3
	s_delay_alu instid0(VALU_DEP_2) | instskip(NEXT) | instid1(VALU_DEP_2)
	v_mov_b32_dpp v78, v76 quad_perm:[1,0,3,2] row_mask:0xf bank_mask:0xf
	v_mov_b32_dpp v79, v77 quad_perm:[1,0,3,2] row_mask:0xf bank_mask:0xf
	s_mov_b32 s44, exec_lo
	s_delay_alu instid0(VALU_DEP_2) | instskip(NEXT) | instid1(VALU_DEP_2)
	v_cmp_eq_f32_e32 vcc_lo, v76, v78
	v_cmp_lt_i32_e64 s3, v77, v79
	v_cmp_gt_f32_e64 s4, v76, v78
	s_delay_alu instid0(VALU_DEP_2)
	s_and_b32 s3, vcc_lo, s3
	s_delay_alu instid0(VALU_DEP_1) | instid1(SALU_CYCLE_1)
	s_or_b32 vcc_lo, s4, s3
	v_dual_cndmask_b32 v76, v78, v76 :: v_dual_cndmask_b32 v77, v79, v77
	s_delay_alu instid0(VALU_DEP_1) | instskip(NEXT) | instid1(VALU_DEP_2)
	v_mov_b32_dpp v78, v76 quad_perm:[2,3,0,1] row_mask:0xf bank_mask:0xf
	v_mov_b32_dpp v79, v77 quad_perm:[2,3,0,1] row_mask:0xf bank_mask:0xf
	s_delay_alu instid0(VALU_DEP_2) | instskip(NEXT) | instid1(VALU_DEP_2)
	v_cmp_eq_f32_e32 vcc_lo, v76, v78
	v_cmp_lt_i32_e64 s3, v77, v79
	s_delay_alu instid0(VALU_DEP_1) | instskip(SKIP_2) | instid1(VALU_DEP_2)
	s_and_b32 vcc_lo, vcc_lo, s3
	v_cmp_gt_f32_e64 s3, v76, v78
	v_cndmask_b32_e32 v80, v78, v76, vcc_lo
	s_or_b32 vcc_lo, s3, vcc_lo
	v_cndmask_b32_e32 v77, v79, v77, vcc_lo
	s_delay_alu instid0(VALU_DEP_2) | instskip(NEXT) | instid1(VALU_DEP_2)
	v_cndmask_b32_e64 v76, v80, v76, s3
	v_mov_b32_dpp v78, v77 row_half_mirror row_mask:0xf bank_mask:0xf
	s_delay_alu instid0(VALU_DEP_2) | instskip(NEXT) | instid1(VALU_DEP_2)
	v_mov_b32_dpp v79, v76 row_half_mirror row_mask:0xf bank_mask:0xf
	v_min_i32_e32 v80, v77, v78
	s_delay_alu instid0(VALU_DEP_2) | instskip(NEXT) | instid1(VALU_DEP_2)
	v_cmp_eq_f32_e32 vcc_lo, v76, v79
	v_cndmask_b32_e32 v78, v78, v80, vcc_lo
	v_cmp_gt_f32_e32 vcc_lo, v76, v79
	s_delay_alu instid0(VALU_DEP_2) | instskip(NEXT) | instid1(VALU_DEP_1)
	v_cndmask_b32_e32 v76, v78, v77, vcc_lo
	v_ashrrev_i32_e32 v77, 31, v76
	s_delay_alu instid0(VALU_DEP_1) | instskip(NEXT) | instid1(VALU_DEP_1)
	v_lshrrev_b32_e32 v77, 27, v77
	v_add_nc_u32_e32 v77, v76, v77
	s_delay_alu instid0(VALU_DEP_1) | instskip(NEXT) | instid1(VALU_DEP_1)
	v_ashrrev_i32_e32 v77, 5, v77
	v_cmpx_eq_u32_e64 v34, v77
	s_cbranch_execz .LBB2_201
; %bb.198:                              ;   in Loop: Header=BB2_195 Depth=1
	v_sub_nc_u32_e32 v77, v76, v75
	s_mov_b32 s45, exec_lo
	s_delay_alu instid0(VALU_DEP_1)
	v_cmp_eq_u32_e32 vcc_lo, 1, v77
	v_cmp_eq_u32_e64 s3, 2, v77
	v_cmp_eq_u32_e64 s4, 3, v77
	;; [unrolled: 1-line block ×30, first 2 shown]
	v_cmpx_gt_u32_e32 32, v77
	s_cbranch_execz .LBB2_200
; %bb.199:                              ;   in Loop: Header=BB2_195 Depth=1
	v_cndmask_b32_e32 v78, v35, v36, vcc_lo
	s_delay_alu instid0(VALU_DEP_1) | instskip(NEXT) | instid1(VALU_DEP_1)
	v_cndmask_b32_e64 v78, v78, v28, s3
	v_cndmask_b32_e64 v78, v78, v37, s4
	s_delay_alu instid0(VALU_DEP_1) | instskip(NEXT) | instid1(VALU_DEP_1)
	v_cndmask_b32_e64 v78, v78, v29, s5
	v_cndmask_b32_e64 v78, v78, v38, s6
	;; [unrolled: 3-line block ×15, first 2 shown]
	flat_store_b32 v[4:5], v78
.LBB2_200:                              ;   in Loop: Header=BB2_195 Depth=1
	s_or_b32 exec_lo, exec_lo, s45
	v_cmp_ne_u32_e64 s34, 0, v77
	v_cndmask_b32_e64 v52, v52, 0xff7fffff, vcc_lo
	v_cndmask_b32_e64 v53, v53, 0xff7fffff, s3
	v_cndmask_b32_e64 v13, v13, 0xff7fffff, s4
	;; [unrolled: 1-line block ×31, first 2 shown]
	global_store_b32 v[2:3], v76, off
.LBB2_201:                              ;   in Loop: Header=BB2_195 Depth=1
	s_or_b32 exec_lo, exec_lo, s44
	s_waitcnt lgkmcnt(0)
	s_waitcnt_vscnt null, 0x0
	s_barrier
	buffer_gl0_inv
	s_and_saveexec_b32 s3, s2
	s_cbranch_execz .LBB2_194
; %bb.202:                              ;   in Loop: Header=BB2_195 Depth=1
	flat_load_b32 v76, v[4:5]
	s_waitcnt vmcnt(0) lgkmcnt(0)
	v_add_f32_e32 v41, v41, v76
	s_branch .LBB2_194
.LBB2_203:
	v_mov_b32_e32 v41, 0
.LBB2_204:
	v_cmp_gt_i64_e64 s3, s[50:51], 0
	v_cmp_eq_u32_e64 s2, 0, v34
	s_delay_alu instid0(VALU_DEP_1) | instskip(NEXT) | instid1(SALU_CYCLE_1)
	s_and_b32 s4, s2, s3
	s_and_saveexec_b32 s3, s4
	s_cbranch_execz .LBB2_210
; %bb.205:
	v_dual_mov_b32 v2, v32 :: v_dual_mov_b32 v3, v33
	s_mov_b32 s4, exec_lo
	v_cmpx_le_u64_e64 s[50:51], v[32:33]
	s_cbranch_execz .LBB2_207
; %bb.206:
	v_cvt_f32_u32_e32 v2, s50
	s_sub_i32 s5, 0, s50
	s_delay_alu instid0(VALU_DEP_1) | instskip(SKIP_2) | instid1(VALU_DEP_1)
	v_rcp_iflag_f32_e32 v2, v2
	s_waitcnt_depctr 0xfff
	v_mul_f32_e32 v2, 0x4f7ffffe, v2
	v_cvt_u32_f32_e32 v2, v2
	s_delay_alu instid0(VALU_DEP_1) | instskip(NEXT) | instid1(VALU_DEP_1)
	v_mul_lo_u32 v3, s5, v2
	v_mul_hi_u32 v3, v2, v3
	s_delay_alu instid0(VALU_DEP_1) | instskip(NEXT) | instid1(VALU_DEP_1)
	v_add_nc_u32_e32 v2, v2, v3
	v_mul_hi_u32 v2, v32, v2
	s_delay_alu instid0(VALU_DEP_1) | instskip(NEXT) | instid1(VALU_DEP_1)
	v_mul_lo_u32 v2, v2, s50
	v_sub_nc_u32_e32 v2, v32, v2
	s_delay_alu instid0(VALU_DEP_1) | instskip(SKIP_1) | instid1(VALU_DEP_2)
	v_subrev_nc_u32_e32 v3, s50, v2
	v_cmp_le_u32_e32 vcc_lo, s50, v2
	v_cndmask_b32_e32 v2, v2, v3, vcc_lo
	s_delay_alu instid0(VALU_DEP_1) | instskip(SKIP_1) | instid1(VALU_DEP_2)
	v_subrev_nc_u32_e32 v3, s50, v2
	v_cmp_le_u32_e32 vcc_lo, s50, v2
	v_dual_cndmask_b32 v2, v2, v3 :: v_dual_mov_b32 v3, 0
.LBB2_207:
	s_or_b32 exec_lo, exec_lo, s4
	v_cvt_f64_f32_e32 v[4:5], v41
	s_load_b64 s[0:1], s[0:1], 0x40
	s_waitcnt lgkmcnt(0)
	s_delay_alu instid0(VALU_DEP_1) | instskip(SKIP_1) | instid1(VALU_DEP_2)
	v_div_scale_f64 v[6:7], null, s[0:1], s[0:1], v[4:5]
	v_div_scale_f64 v[12:13], vcc_lo, v[4:5], s[0:1], v[4:5]
	v_rcp_f64_e32 v[8:9], v[6:7]
	s_waitcnt_depctr 0xfff
	v_fma_f64 v[10:11], -v[6:7], v[8:9], 1.0
	s_delay_alu instid0(VALU_DEP_1) | instskip(NEXT) | instid1(VALU_DEP_1)
	v_fma_f64 v[8:9], v[8:9], v[10:11], v[8:9]
	v_fma_f64 v[10:11], -v[6:7], v[8:9], 1.0
	s_delay_alu instid0(VALU_DEP_1) | instskip(NEXT) | instid1(VALU_DEP_1)
	v_fma_f64 v[8:9], v[8:9], v[10:11], v[8:9]
	v_mul_f64 v[10:11], v[12:13], v[8:9]
	s_delay_alu instid0(VALU_DEP_1) | instskip(NEXT) | instid1(VALU_DEP_1)
	v_fma_f64 v[6:7], -v[6:7], v[10:11], v[12:13]
	v_div_fmas_f64 v[6:7], v[6:7], v[8:9], v[10:11]
	v_add_nc_u32_e32 v11, 0x100, v2
	s_delay_alu instid0(VALU_DEP_2) | instskip(SKIP_2) | instid1(VALU_DEP_2)
	v_div_fixup_f64 v[4:5], v[6:7], s[0:1], v[4:5]
	v_mad_u64_u32 v[6:7], null, s35, v32, s[36:37]
	s_ashr_i32 s0, s35, 31
	v_cvt_f32_f64_e32 v8, v[4:5]
	s_delay_alu instid0(VALU_DEP_2) | instskip(NEXT) | instid1(VALU_DEP_1)
	v_mov_b32_e32 v4, v7
	v_mad_u64_u32 v[9:10], null, s0, v32, v[4:5]
	v_cmp_lt_u64_e64 s0, s[50:51], 2
	s_delay_alu instid0(VALU_DEP_2) | instskip(NEXT) | instid1(VALU_DEP_1)
	v_mov_b32_e32 v7, v9
	v_lshlrev_b64 v[4:5], 2, v[6:7]
	s_delay_alu instid0(VALU_DEP_1) | instskip(NEXT) | instid1(VALU_DEP_2)
	v_add_co_u32 v6, vcc_lo, s42, v4
	v_add_co_ci_u32_e32 v7, vcc_lo, s43, v5, vcc_lo
	v_add_co_u32 v9, vcc_lo, s40, v4
	v_add_co_ci_u32_e32 v10, vcc_lo, s41, v5, vcc_lo
	s_and_b32 vcc_lo, exec_lo, s0
	global_store_b32 v[6:7], v11, off
	global_store_b32 v[9:10], v8, off
	s_cbranch_vccnz .LBB2_210
; %bb.208:
	v_add_co_u32 v6, vcc_lo, v4, 4
	v_add_co_ci_u32_e32 v7, vcc_lo, 0, v5, vcc_lo
	s_mov_b64 s[0:1], 1
	s_delay_alu instid0(VALU_DEP_2) | instskip(NEXT) | instid1(VALU_DEP_2)
	v_add_co_u32 v4, vcc_lo, s40, v6
	v_add_co_ci_u32_e32 v5, vcc_lo, s41, v7, vcc_lo
	v_add_co_u32 v6, vcc_lo, s42, v6
	v_add_co_ci_u32_e32 v7, vcc_lo, s43, v7, vcc_lo
	.p2align	6
.LBB2_209:                              ; =>This Inner Loop Header: Depth=1
	s_delay_alu instid0(VALU_DEP_2)
	v_add_co_u32 v9, vcc_lo, v2, 1
	v_add_co_ci_u32_e32 v10, vcc_lo, 0, v3, vcc_lo
	v_add_nc_u32_e32 v2, 0x101, v2
	s_add_u32 s0, s0, 1
	global_store_b32 v[4:5], v8, off
	v_add_co_u32 v4, vcc_lo, v4, 4
	s_addc_u32 s1, s1, 0
	v_add_co_ci_u32_e32 v5, vcc_lo, 0, v5, vcc_lo
	v_cmp_lt_u64_e64 s4, s[0:1], s[50:51]
	global_store_b32 v[6:7], v2, off
	v_add_co_u32 v6, vcc_lo, v6, 4
	v_dual_mov_b32 v2, v9 :: v_dual_mov_b32 v3, v10
	v_add_co_ci_u32_e32 v7, vcc_lo, 0, v7, vcc_lo
	s_and_b32 vcc_lo, exec_lo, s4
	s_cbranch_vccnz .LBB2_209
.LBB2_210:
	s_or_b32 exec_lo, exec_lo, s3
	v_cmp_gt_i64_e64 s3, s[48:49], 0
	s_mov_b64 s[0:1], 0
	s_waitcnt lgkmcnt(0)
	s_waitcnt_vscnt null, 0x0
	s_barrier
	buffer_gl0_inv
	s_and_b32 s2, s2, s3
	s_delay_alu instid0(SALU_CYCLE_1)
	s_and_b32 exec_lo, exec_lo, s2
	s_cbranch_execz .LBB2_217
; %bb.211:
	v_mad_u64_u32 v[2:3], null, s35, v32, 0
	s_ashr_i32 s2, s35, 31
	s_delay_alu instid0(VALU_DEP_1) | instid1(SALU_CYCLE_1)
	v_mad_u64_u32 v[4:5], null, s2, v32, v[3:4]
	v_cmp_lt_u64_e64 s2, s[48:49], 8
	s_delay_alu instid0(VALU_DEP_2) | instskip(NEXT) | instid1(VALU_DEP_1)
	v_mov_b32_e32 v3, v4
	v_lshlrev_b64 v[2:3], 2, v[2:3]
	s_delay_alu instid0(VALU_DEP_1) | instskip(NEXT) | instid1(VALU_DEP_2)
	v_add_co_u32 v2, vcc_lo, s40, v2
	v_add_co_ci_u32_e32 v3, vcc_lo, s41, v3, vcc_lo
	s_and_b32 vcc_lo, exec_lo, s2
	s_cbranch_vccnz .LBB2_214
; %bb.212:
	s_and_b32 s1, s49, 0x7fffffff
	s_and_b32 s0, s48, -8
	s_mov_b64 s[2:3], 0
	s_mov_b64 s[4:5], s[0:1]
.LBB2_213:                              ; =>This Inner Loop Header: Depth=1
	v_add_co_u32 v4, vcc_lo, v0, s2
	v_add_co_ci_u32_e32 v5, vcc_lo, s3, v1, vcc_lo
	flat_load_b32 v8, v[4:5]
	s_waitcnt vmcnt(0) lgkmcnt(0)
	v_div_scale_f32 v6, null, v41, v41, v8
	v_div_scale_f32 v10, vcc_lo, v8, v41, v8
	s_delay_alu instid0(VALU_DEP_2) | instskip(SKIP_2) | instid1(VALU_DEP_1)
	v_rcp_f32_e32 v7, v6
	s_waitcnt_depctr 0xfff
	v_fma_f32 v9, -v6, v7, 1.0
	v_fmac_f32_e32 v7, v9, v7
	s_delay_alu instid0(VALU_DEP_1) | instskip(NEXT) | instid1(VALU_DEP_1)
	v_mul_f32_e32 v9, v10, v7
	v_fma_f32 v11, -v6, v9, v10
	s_delay_alu instid0(VALU_DEP_1) | instskip(NEXT) | instid1(VALU_DEP_1)
	v_fmac_f32_e32 v9, v11, v7
	v_fma_f32 v6, -v6, v9, v10
	s_delay_alu instid0(VALU_DEP_1) | instskip(SKIP_2) | instid1(VALU_DEP_3)
	v_div_fmas_f32 v9, v6, v7, v9
	v_add_co_u32 v6, vcc_lo, v2, s2
	v_add_co_ci_u32_e32 v7, vcc_lo, s3, v3, vcc_lo
	v_div_fixup_f32 v8, v9, v41, v8
	s_add_u32 s2, s2, 32
	s_addc_u32 s3, s3, 0
	s_add_u32 s4, s4, -8
	s_addc_u32 s5, s5, -1
	global_store_b32 v[6:7], v8, off
	flat_load_b32 v8, v[4:5] offset:4
	s_cmp_lg_u64 s[4:5], 0
	s_waitcnt vmcnt(0) lgkmcnt(0)
	v_div_scale_f32 v9, null, v41, v41, v8
	v_div_scale_f32 v12, vcc_lo, v8, v41, v8
	s_delay_alu instid0(VALU_DEP_2) | instskip(SKIP_2) | instid1(VALU_DEP_1)
	v_rcp_f32_e32 v10, v9
	s_waitcnt_depctr 0xfff
	v_fma_f32 v11, -v9, v10, 1.0
	v_fmac_f32_e32 v10, v11, v10
	s_delay_alu instid0(VALU_DEP_1) | instskip(NEXT) | instid1(VALU_DEP_1)
	v_mul_f32_e32 v11, v12, v10
	v_fma_f32 v13, -v9, v11, v12
	s_delay_alu instid0(VALU_DEP_1) | instskip(NEXT) | instid1(VALU_DEP_1)
	v_fmac_f32_e32 v11, v13, v10
	v_fma_f32 v9, -v9, v11, v12
	s_delay_alu instid0(VALU_DEP_1) | instskip(NEXT) | instid1(VALU_DEP_1)
	v_div_fmas_f32 v9, v9, v10, v11
	v_div_fixup_f32 v8, v9, v41, v8
	global_store_b32 v[6:7], v8, off offset:4
	flat_load_b32 v8, v[4:5] offset:8
	s_waitcnt vmcnt(0) lgkmcnt(0)
	v_div_scale_f32 v9, null, v41, v41, v8
	v_div_scale_f32 v12, vcc_lo, v8, v41, v8
	s_delay_alu instid0(VALU_DEP_2) | instskip(SKIP_2) | instid1(VALU_DEP_1)
	v_rcp_f32_e32 v10, v9
	s_waitcnt_depctr 0xfff
	v_fma_f32 v11, -v9, v10, 1.0
	v_fmac_f32_e32 v10, v11, v10
	s_delay_alu instid0(VALU_DEP_1) | instskip(NEXT) | instid1(VALU_DEP_1)
	v_mul_f32_e32 v11, v12, v10
	v_fma_f32 v13, -v9, v11, v12
	s_delay_alu instid0(VALU_DEP_1) | instskip(NEXT) | instid1(VALU_DEP_1)
	v_fmac_f32_e32 v11, v13, v10
	v_fma_f32 v9, -v9, v11, v12
	s_delay_alu instid0(VALU_DEP_1) | instskip(NEXT) | instid1(VALU_DEP_1)
	v_div_fmas_f32 v9, v9, v10, v11
	v_div_fixup_f32 v8, v9, v41, v8
	global_store_b32 v[6:7], v8, off offset:8
	flat_load_b32 v8, v[4:5] offset:12
	s_waitcnt vmcnt(0) lgkmcnt(0)
	v_div_scale_f32 v9, null, v41, v41, v8
	v_div_scale_f32 v12, vcc_lo, v8, v41, v8
	s_delay_alu instid0(VALU_DEP_2) | instskip(SKIP_2) | instid1(VALU_DEP_1)
	v_rcp_f32_e32 v10, v9
	s_waitcnt_depctr 0xfff
	v_fma_f32 v11, -v9, v10, 1.0
	v_fmac_f32_e32 v10, v11, v10
	s_delay_alu instid0(VALU_DEP_1) | instskip(NEXT) | instid1(VALU_DEP_1)
	v_mul_f32_e32 v11, v12, v10
	v_fma_f32 v13, -v9, v11, v12
	s_delay_alu instid0(VALU_DEP_1) | instskip(NEXT) | instid1(VALU_DEP_1)
	v_fmac_f32_e32 v11, v13, v10
	v_fma_f32 v9, -v9, v11, v12
	s_delay_alu instid0(VALU_DEP_1) | instskip(NEXT) | instid1(VALU_DEP_1)
	v_div_fmas_f32 v9, v9, v10, v11
	v_div_fixup_f32 v8, v9, v41, v8
	global_store_b32 v[6:7], v8, off offset:12
	flat_load_b32 v8, v[4:5] offset:16
	s_waitcnt vmcnt(0) lgkmcnt(0)
	v_div_scale_f32 v9, null, v41, v41, v8
	v_div_scale_f32 v12, vcc_lo, v8, v41, v8
	s_delay_alu instid0(VALU_DEP_2) | instskip(SKIP_2) | instid1(VALU_DEP_1)
	v_rcp_f32_e32 v10, v9
	s_waitcnt_depctr 0xfff
	v_fma_f32 v11, -v9, v10, 1.0
	v_fmac_f32_e32 v10, v11, v10
	s_delay_alu instid0(VALU_DEP_1) | instskip(NEXT) | instid1(VALU_DEP_1)
	v_mul_f32_e32 v11, v12, v10
	v_fma_f32 v13, -v9, v11, v12
	s_delay_alu instid0(VALU_DEP_1) | instskip(NEXT) | instid1(VALU_DEP_1)
	v_fmac_f32_e32 v11, v13, v10
	v_fma_f32 v9, -v9, v11, v12
	s_delay_alu instid0(VALU_DEP_1) | instskip(NEXT) | instid1(VALU_DEP_1)
	v_div_fmas_f32 v9, v9, v10, v11
	v_div_fixup_f32 v8, v9, v41, v8
	global_store_b32 v[6:7], v8, off offset:16
	flat_load_b32 v8, v[4:5] offset:20
	s_waitcnt vmcnt(0) lgkmcnt(0)
	v_div_scale_f32 v9, null, v41, v41, v8
	v_div_scale_f32 v12, vcc_lo, v8, v41, v8
	s_delay_alu instid0(VALU_DEP_2) | instskip(SKIP_2) | instid1(VALU_DEP_1)
	v_rcp_f32_e32 v10, v9
	s_waitcnt_depctr 0xfff
	v_fma_f32 v11, -v9, v10, 1.0
	v_fmac_f32_e32 v10, v11, v10
	s_delay_alu instid0(VALU_DEP_1) | instskip(NEXT) | instid1(VALU_DEP_1)
	v_mul_f32_e32 v11, v12, v10
	v_fma_f32 v13, -v9, v11, v12
	s_delay_alu instid0(VALU_DEP_1) | instskip(NEXT) | instid1(VALU_DEP_1)
	v_fmac_f32_e32 v11, v13, v10
	v_fma_f32 v9, -v9, v11, v12
	s_delay_alu instid0(VALU_DEP_1) | instskip(NEXT) | instid1(VALU_DEP_1)
	v_div_fmas_f32 v9, v9, v10, v11
	v_div_fixup_f32 v8, v9, v41, v8
	global_store_b32 v[6:7], v8, off offset:20
	flat_load_b32 v8, v[4:5] offset:24
	s_waitcnt vmcnt(0) lgkmcnt(0)
	v_div_scale_f32 v9, null, v41, v41, v8
	v_div_scale_f32 v12, vcc_lo, v8, v41, v8
	s_delay_alu instid0(VALU_DEP_2) | instskip(SKIP_2) | instid1(VALU_DEP_1)
	v_rcp_f32_e32 v10, v9
	s_waitcnt_depctr 0xfff
	v_fma_f32 v11, -v9, v10, 1.0
	v_fmac_f32_e32 v10, v11, v10
	s_delay_alu instid0(VALU_DEP_1) | instskip(NEXT) | instid1(VALU_DEP_1)
	v_mul_f32_e32 v11, v12, v10
	v_fma_f32 v13, -v9, v11, v12
	s_delay_alu instid0(VALU_DEP_1) | instskip(NEXT) | instid1(VALU_DEP_1)
	v_fmac_f32_e32 v11, v13, v10
	v_fma_f32 v9, -v9, v11, v12
	s_delay_alu instid0(VALU_DEP_1) | instskip(NEXT) | instid1(VALU_DEP_1)
	v_div_fmas_f32 v9, v9, v10, v11
	v_div_fixup_f32 v8, v9, v41, v8
	global_store_b32 v[6:7], v8, off offset:24
	flat_load_b32 v4, v[4:5] offset:28
	s_waitcnt vmcnt(0) lgkmcnt(0)
	v_div_scale_f32 v5, null, v41, v41, v4
	v_div_scale_f32 v10, vcc_lo, v4, v41, v4
	s_delay_alu instid0(VALU_DEP_2) | instskip(SKIP_2) | instid1(VALU_DEP_1)
	v_rcp_f32_e32 v8, v5
	s_waitcnt_depctr 0xfff
	v_fma_f32 v9, -v5, v8, 1.0
	v_fmac_f32_e32 v8, v9, v8
	s_delay_alu instid0(VALU_DEP_1) | instskip(NEXT) | instid1(VALU_DEP_1)
	v_mul_f32_e32 v9, v10, v8
	v_fma_f32 v11, -v5, v9, v10
	s_delay_alu instid0(VALU_DEP_1) | instskip(NEXT) | instid1(VALU_DEP_1)
	v_fmac_f32_e32 v9, v11, v8
	v_fma_f32 v5, -v5, v9, v10
	s_delay_alu instid0(VALU_DEP_1) | instskip(NEXT) | instid1(VALU_DEP_1)
	v_div_fmas_f32 v5, v5, v8, v9
	v_div_fixup_f32 v4, v5, v41, v4
	global_store_b32 v[6:7], v4, off offset:28
	s_cbranch_scc1 .LBB2_213
.LBB2_214:
	s_and_b32 s2, s48, 7
	s_mov_b32 s3, 0
	s_delay_alu instid0(SALU_CYCLE_1)
	s_cmp_eq_u64 s[2:3], 0
	s_cbranch_scc1 .LBB2_217
; %bb.215:
	s_mov_b64 s[4:5], s[2:3]
	s_set_inst_prefetch_distance 0x1
	.p2align	6
.LBB2_216:                              ; =>This Inner Loop Header: Depth=1
	s_lshl_b64 s[6:7], s[0:1], 2
	s_add_i32 s2, s0, 1
	v_add_co_u32 v4, vcc_lo, v0, s6
	v_add_co_ci_u32_e32 v5, vcc_lo, s7, v1, vcc_lo
	s_add_u32 s4, s4, -1
	s_addc_u32 s5, s5, -1
	s_mov_b64 s[0:1], s[2:3]
	flat_load_b32 v6, v[4:5]
	s_cmp_lg_u64 s[4:5], 0
	s_waitcnt vmcnt(0) lgkmcnt(0)
	v_div_scale_f32 v4, null, v41, v41, v6
	v_div_scale_f32 v8, vcc_lo, v6, v41, v6
	s_delay_alu instid0(VALU_DEP_2) | instskip(SKIP_2) | instid1(VALU_DEP_1)
	v_rcp_f32_e32 v5, v4
	s_waitcnt_depctr 0xfff
	v_fma_f32 v7, -v4, v5, 1.0
	v_fmac_f32_e32 v5, v7, v5
	s_delay_alu instid0(VALU_DEP_1) | instskip(NEXT) | instid1(VALU_DEP_1)
	v_mul_f32_e32 v7, v8, v5
	v_fma_f32 v9, -v4, v7, v8
	s_delay_alu instid0(VALU_DEP_1) | instskip(NEXT) | instid1(VALU_DEP_1)
	v_fmac_f32_e32 v7, v9, v5
	v_fma_f32 v4, -v4, v7, v8
	s_delay_alu instid0(VALU_DEP_1) | instskip(SKIP_2) | instid1(VALU_DEP_3)
	v_div_fmas_f32 v7, v4, v5, v7
	v_add_co_u32 v4, vcc_lo, v2, s6
	v_add_co_ci_u32_e32 v5, vcc_lo, s7, v3, vcc_lo
	v_div_fixup_f32 v6, v7, v41, v6
	global_store_b32 v[4:5], v6, off
	s_cbranch_scc1 .LBB2_216
.LBB2_217:
	s_set_inst_prefetch_distance 0x2
	s_nop 0
	s_sendmsg sendmsg(MSG_DEALLOC_VGPRS)
	s_endpgm
	.section	.rodata,"a",@progbits
	.p2align	6, 0x0
	.amdhsa_kernel _Z21moe_fused_gate_kernelIDF16_Li32ELi256ELi8ELi1EEvPvS0_PfPilllldi
		.amdhsa_group_segment_fixed_size 0
		.amdhsa_private_segment_fixed_size 0
		.amdhsa_kernarg_size 76
		.amdhsa_user_sgpr_count 15
		.amdhsa_user_sgpr_dispatch_ptr 0
		.amdhsa_user_sgpr_queue_ptr 0
		.amdhsa_user_sgpr_kernarg_segment_ptr 1
		.amdhsa_user_sgpr_dispatch_id 0
		.amdhsa_user_sgpr_private_segment_size 0
		.amdhsa_wavefront_size32 1
		.amdhsa_uses_dynamic_stack 0
		.amdhsa_enable_private_segment 0
		.amdhsa_system_sgpr_workgroup_id_x 1
		.amdhsa_system_sgpr_workgroup_id_y 0
		.amdhsa_system_sgpr_workgroup_id_z 0
		.amdhsa_system_sgpr_workgroup_info 0
		.amdhsa_system_vgpr_workitem_id 1
		.amdhsa_next_free_vgpr 81
		.amdhsa_next_free_sgpr 52
		.amdhsa_reserve_vcc 1
		.amdhsa_float_round_mode_32 0
		.amdhsa_float_round_mode_16_64 0
		.amdhsa_float_denorm_mode_32 3
		.amdhsa_float_denorm_mode_16_64 3
		.amdhsa_dx10_clamp 1
		.amdhsa_ieee_mode 1
		.amdhsa_fp16_overflow 0
		.amdhsa_workgroup_processor_mode 1
		.amdhsa_memory_ordered 1
		.amdhsa_forward_progress 0
		.amdhsa_shared_vgpr_count 0
		.amdhsa_exception_fp_ieee_invalid_op 0
		.amdhsa_exception_fp_denorm_src 0
		.amdhsa_exception_fp_ieee_div_zero 0
		.amdhsa_exception_fp_ieee_overflow 0
		.amdhsa_exception_fp_ieee_underflow 0
		.amdhsa_exception_fp_ieee_inexact 0
		.amdhsa_exception_int_div_zero 0
	.end_amdhsa_kernel
	.section	.text._Z21moe_fused_gate_kernelIDF16_Li32ELi256ELi8ELi1EEvPvS0_PfPilllldi,"axG",@progbits,_Z21moe_fused_gate_kernelIDF16_Li32ELi256ELi8ELi1EEvPvS0_PfPilllldi,comdat
.Lfunc_end2:
	.size	_Z21moe_fused_gate_kernelIDF16_Li32ELi256ELi8ELi1EEvPvS0_PfPilllldi, .Lfunc_end2-_Z21moe_fused_gate_kernelIDF16_Li32ELi256ELi8ELi1EEvPvS0_PfPilllldi
                                        ; -- End function
	.section	.AMDGPU.csdata,"",@progbits
; Kernel info:
; codeLenInByte = 14684
; NumSgprs: 54
; NumVgprs: 81
; ScratchSize: 0
; MemoryBound: 1
; FloatMode: 240
; IeeeMode: 1
; LDSByteSize: 0 bytes/workgroup (compile time only)
; SGPRBlocks: 6
; VGPRBlocks: 10
; NumSGPRsForWavesPerEU: 54
; NumVGPRsForWavesPerEU: 81
; Occupancy: 16
; WaveLimiterHint : 0
; COMPUTE_PGM_RSRC2:SCRATCH_EN: 0
; COMPUTE_PGM_RSRC2:USER_SGPR: 15
; COMPUTE_PGM_RSRC2:TRAP_HANDLER: 0
; COMPUTE_PGM_RSRC2:TGID_X_EN: 1
; COMPUTE_PGM_RSRC2:TGID_Y_EN: 0
; COMPUTE_PGM_RSRC2:TGID_Z_EN: 0
; COMPUTE_PGM_RSRC2:TIDIG_COMP_CNT: 1
	.section	.text._Z21moe_fused_gate_kernelIfLi32ELi256ELi8ELi1EEvPvS0_PfPilllldi,"axG",@progbits,_Z21moe_fused_gate_kernelIfLi32ELi256ELi8ELi1EEvPvS0_PfPilllldi,comdat
	.protected	_Z21moe_fused_gate_kernelIfLi32ELi256ELi8ELi1EEvPvS0_PfPilllldi ; -- Begin function _Z21moe_fused_gate_kernelIfLi32ELi256ELi8ELi1EEvPvS0_PfPilllldi
	.globl	_Z21moe_fused_gate_kernelIfLi32ELi256ELi8ELi1EEvPvS0_PfPilllldi
	.p2align	8
	.type	_Z21moe_fused_gate_kernelIfLi32ELi256ELi8ELi1EEvPvS0_PfPilllldi,@function
_Z21moe_fused_gate_kernelIfLi32ELi256ELi8ELi1EEvPvS0_PfPilllldi: ; @_Z21moe_fused_gate_kernelIfLi32ELi256ELi8ELi1EEvPvS0_PfPilllldi
; %bb.0:
	s_load_b512 s[36:51], s[0:1], 0x0
	v_bfe_u32 v1, v0, 10, 10
	v_dual_mov_b32 v67, 0 :: v_dual_and_b32 v0, 0x3ff, v0
	s_mov_b32 s2, exec_lo
	s_delay_alu instid0(VALU_DEP_2) | instskip(NEXT) | instid1(VALU_DEP_2)
	v_add_nc_u32_e32 v1, s15, v1
	v_lshrrev_b32_e32 v69, 3, v0
	s_delay_alu instid0(VALU_DEP_3) | instskip(NEXT) | instid1(VALU_DEP_2)
	v_mov_b32_e32 v65, v67
	v_lshl_add_u32 v64, v1, 2, v69
	s_waitcnt lgkmcnt(0)
	s_delay_alu instid0(VALU_DEP_1)
	v_cmpx_gt_i64_e64 s[44:45], v[64:65]
	s_cbranch_execz .LBB3_217
; %bb.1:
	v_and_b32_e32 v66, 7, v0
	v_lshlrev_b64 v[0:1], 10, v[64:65]
	s_mov_b32 s2, exec_lo
	s_delay_alu instid0(VALU_DEP_2) | instskip(NEXT) | instid1(VALU_DEP_2)
	v_lshlrev_b32_e32 v28, 7, v66
	v_add_co_u32 v0, vcc_lo, s36, v0
	s_delay_alu instid0(VALU_DEP_3) | instskip(NEXT) | instid1(VALU_DEP_2)
	v_add_co_ci_u32_e32 v1, vcc_lo, s37, v1, vcc_lo
	v_add_co_u32 v0, vcc_lo, v0, v28
	s_delay_alu instid0(VALU_DEP_2)
	v_add_co_ci_u32_e32 v1, vcc_lo, 0, v1, vcc_lo
	s_clause 0x7
	global_load_b128 v[32:35], v[0:1], off offset:112
	global_load_b128 v[36:39], v[0:1], off offset:96
	;; [unrolled: 1-line block ×7, first 2 shown]
	global_load_b128 v[60:63], v[0:1], off
	s_clause 0x7
	global_load_b128 v[0:3], v28, s[38:39] offset:112
	global_load_b128 v[4:7], v28, s[38:39] offset:96
	;; [unrolled: 1-line block ×7, first 2 shown]
	global_load_b128 v[28:31], v28, s[38:39]
	s_waitcnt vmcnt(8)
	v_cmpx_o_f32_e32 v60, v60
	s_cbranch_execz .LBB3_3
; %bb.2:
	v_mul_f32_e32 v67, 0xbfb8aa3b, v60
	v_cmp_nlt_f32_e32 vcc_lo, 0x42ce8ed0, v60
	s_delay_alu instid0(VALU_DEP_2) | instskip(SKIP_1) | instid1(VALU_DEP_1)
	v_rndne_f32_e32 v68, v67
	v_fma_f32 v70, 0xbfb8aa3b, v60, -v67
	v_dual_sub_f32 v67, v67, v68 :: v_dual_fmamk_f32 v70, v60, 0xb2a5705f, v70
	v_cvt_i32_f32_e32 v68, v68
	s_delay_alu instid0(VALU_DEP_2) | instskip(NEXT) | instid1(VALU_DEP_1)
	v_add_f32_e32 v67, v67, v70
	v_exp_f32_e32 v67, v67
	s_waitcnt_depctr 0xfff
	v_ldexp_f32 v67, v67, v68
	s_delay_alu instid0(VALU_DEP_1) | instskip(SKIP_1) | instid1(VALU_DEP_2)
	v_cndmask_b32_e32 v67, 0, v67, vcc_lo
	v_cmp_ngt_f32_e32 vcc_lo, 0xc2b17218, v60
	v_cndmask_b32_e32 v60, 0x7f800000, v67, vcc_lo
	s_delay_alu instid0(VALU_DEP_1) | instskip(NEXT) | instid1(VALU_DEP_1)
	v_add_f32_e32 v60, 1.0, v60
	v_div_scale_f32 v67, null, v60, v60, 1.0
	s_delay_alu instid0(VALU_DEP_1) | instskip(SKIP_2) | instid1(VALU_DEP_1)
	v_rcp_f32_e32 v68, v67
	s_waitcnt_depctr 0xfff
	v_fma_f32 v70, -v67, v68, 1.0
	v_fmac_f32_e32 v68, v70, v68
	v_div_scale_f32 v70, vcc_lo, 1.0, v60, 1.0
	s_delay_alu instid0(VALU_DEP_1) | instskip(NEXT) | instid1(VALU_DEP_1)
	v_mul_f32_e32 v71, v70, v68
	v_fma_f32 v72, -v67, v71, v70
	s_delay_alu instid0(VALU_DEP_1) | instskip(NEXT) | instid1(VALU_DEP_1)
	v_fmac_f32_e32 v71, v72, v68
	v_fma_f32 v67, -v67, v71, v70
	s_delay_alu instid0(VALU_DEP_1) | instskip(NEXT) | instid1(VALU_DEP_1)
	v_div_fmas_f32 v67, v67, v68, v71
	v_div_fixup_f32 v67, v67, v60, 1.0
.LBB3_3:
	s_or_b32 exec_lo, exec_lo, s2
	v_mov_b32_e32 v60, 0
	v_mov_b32_e32 v68, 0
	s_mov_b32 s2, exec_lo
	v_cmpx_o_f32_e32 v61, v61
	s_cbranch_execz .LBB3_5
; %bb.4:
	v_mul_f32_e32 v68, 0xbfb8aa3b, v61
	v_cmp_nlt_f32_e32 vcc_lo, 0x42ce8ed0, v61
	s_delay_alu instid0(VALU_DEP_2) | instskip(SKIP_1) | instid1(VALU_DEP_1)
	v_rndne_f32_e32 v70, v68
	v_fma_f32 v71, 0xbfb8aa3b, v61, -v68
	v_dual_sub_f32 v68, v68, v70 :: v_dual_fmamk_f32 v71, v61, 0xb2a5705f, v71
	v_cvt_i32_f32_e32 v70, v70
	s_delay_alu instid0(VALU_DEP_2) | instskip(NEXT) | instid1(VALU_DEP_1)
	v_add_f32_e32 v68, v68, v71
	v_exp_f32_e32 v68, v68
	s_waitcnt_depctr 0xfff
	v_ldexp_f32 v68, v68, v70
	s_delay_alu instid0(VALU_DEP_1) | instskip(SKIP_1) | instid1(VALU_DEP_2)
	v_cndmask_b32_e32 v68, 0, v68, vcc_lo
	v_cmp_ngt_f32_e32 vcc_lo, 0xc2b17218, v61
	v_cndmask_b32_e32 v61, 0x7f800000, v68, vcc_lo
	s_delay_alu instid0(VALU_DEP_1) | instskip(NEXT) | instid1(VALU_DEP_1)
	v_add_f32_e32 v61, 1.0, v61
	v_div_scale_f32 v68, null, v61, v61, 1.0
	s_delay_alu instid0(VALU_DEP_1) | instskip(SKIP_2) | instid1(VALU_DEP_1)
	v_rcp_f32_e32 v70, v68
	s_waitcnt_depctr 0xfff
	v_fma_f32 v71, -v68, v70, 1.0
	v_fmac_f32_e32 v70, v71, v70
	v_div_scale_f32 v71, vcc_lo, 1.0, v61, 1.0
	s_delay_alu instid0(VALU_DEP_1) | instskip(NEXT) | instid1(VALU_DEP_1)
	v_mul_f32_e32 v72, v71, v70
	v_fma_f32 v73, -v68, v72, v71
	s_delay_alu instid0(VALU_DEP_1) | instskip(NEXT) | instid1(VALU_DEP_1)
	v_fmac_f32_e32 v72, v73, v70
	v_fma_f32 v68, -v68, v72, v71
	s_delay_alu instid0(VALU_DEP_1) | instskip(NEXT) | instid1(VALU_DEP_1)
	v_div_fmas_f32 v68, v68, v70, v72
	v_div_fixup_f32 v68, v68, v61, 1.0
.LBB3_5:
	s_or_b32 exec_lo, exec_lo, s2
	s_delay_alu instid0(SALU_CYCLE_1)
	s_mov_b32 s2, exec_lo
	v_cmpx_o_f32_e32 v62, v62
	s_cbranch_execz .LBB3_7
; %bb.6:
	v_mul_f32_e32 v60, 0xbfb8aa3b, v62
	v_cmp_nlt_f32_e32 vcc_lo, 0x42ce8ed0, v62
	s_delay_alu instid0(VALU_DEP_2) | instskip(SKIP_1) | instid1(VALU_DEP_2)
	v_rndne_f32_e32 v61, v60
	v_fma_f32 v70, 0xbfb8aa3b, v62, -v60
	v_sub_f32_e32 v60, v60, v61
	s_delay_alu instid0(VALU_DEP_2) | instskip(SKIP_1) | instid1(VALU_DEP_2)
	v_fmamk_f32 v70, v62, 0xb2a5705f, v70
	v_cvt_i32_f32_e32 v61, v61
	v_add_f32_e32 v60, v60, v70
	s_delay_alu instid0(VALU_DEP_1) | instskip(SKIP_2) | instid1(VALU_DEP_1)
	v_exp_f32_e32 v60, v60
	s_waitcnt_depctr 0xfff
	v_ldexp_f32 v60, v60, v61
	v_cndmask_b32_e32 v60, 0, v60, vcc_lo
	v_cmp_ngt_f32_e32 vcc_lo, 0xc2b17218, v62
	s_delay_alu instid0(VALU_DEP_2) | instskip(NEXT) | instid1(VALU_DEP_1)
	v_cndmask_b32_e32 v60, 0x7f800000, v60, vcc_lo
	v_add_f32_e32 v60, 1.0, v60
	s_delay_alu instid0(VALU_DEP_1) | instskip(NEXT) | instid1(VALU_DEP_1)
	v_div_scale_f32 v61, null, v60, v60, 1.0
	v_rcp_f32_e32 v62, v61
	s_waitcnt_depctr 0xfff
	v_fma_f32 v70, -v61, v62, 1.0
	s_delay_alu instid0(VALU_DEP_1) | instskip(SKIP_1) | instid1(VALU_DEP_1)
	v_fmac_f32_e32 v62, v70, v62
	v_div_scale_f32 v70, vcc_lo, 1.0, v60, 1.0
	v_mul_f32_e32 v71, v70, v62
	s_delay_alu instid0(VALU_DEP_1) | instskip(NEXT) | instid1(VALU_DEP_1)
	v_fma_f32 v72, -v61, v71, v70
	v_fmac_f32_e32 v71, v72, v62
	s_delay_alu instid0(VALU_DEP_1) | instskip(NEXT) | instid1(VALU_DEP_1)
	v_fma_f32 v61, -v61, v71, v70
	v_div_fmas_f32 v61, v61, v62, v71
	s_delay_alu instid0(VALU_DEP_1)
	v_div_fixup_f32 v60, v61, v60, 1.0
.LBB3_7:
	s_or_b32 exec_lo, exec_lo, s2
	v_dual_mov_b32 v61, 0 :: v_dual_mov_b32 v62, 0
	s_mov_b32 s2, exec_lo
	v_cmpx_o_f32_e32 v63, v63
	s_cbranch_execz .LBB3_9
; %bb.8:
	v_mul_f32_e32 v62, 0xbfb8aa3b, v63
	v_cmp_nlt_f32_e32 vcc_lo, 0x42ce8ed0, v63
	s_delay_alu instid0(VALU_DEP_2) | instskip(SKIP_1) | instid1(VALU_DEP_1)
	v_rndne_f32_e32 v70, v62
	v_fma_f32 v71, 0xbfb8aa3b, v63, -v62
	v_dual_sub_f32 v62, v62, v70 :: v_dual_fmamk_f32 v71, v63, 0xb2a5705f, v71
	v_cvt_i32_f32_e32 v70, v70
	s_delay_alu instid0(VALU_DEP_2) | instskip(NEXT) | instid1(VALU_DEP_1)
	v_add_f32_e32 v62, v62, v71
	v_exp_f32_e32 v62, v62
	s_waitcnt_depctr 0xfff
	v_ldexp_f32 v62, v62, v70
	s_delay_alu instid0(VALU_DEP_1) | instskip(SKIP_1) | instid1(VALU_DEP_2)
	v_cndmask_b32_e32 v62, 0, v62, vcc_lo
	v_cmp_ngt_f32_e32 vcc_lo, 0xc2b17218, v63
	v_cndmask_b32_e32 v62, 0x7f800000, v62, vcc_lo
	s_delay_alu instid0(VALU_DEP_1) | instskip(NEXT) | instid1(VALU_DEP_1)
	v_add_f32_e32 v62, 1.0, v62
	v_div_scale_f32 v63, null, v62, v62, 1.0
	s_delay_alu instid0(VALU_DEP_1) | instskip(SKIP_2) | instid1(VALU_DEP_1)
	v_rcp_f32_e32 v70, v63
	s_waitcnt_depctr 0xfff
	v_fma_f32 v71, -v63, v70, 1.0
	v_fmac_f32_e32 v70, v71, v70
	v_div_scale_f32 v71, vcc_lo, 1.0, v62, 1.0
	s_delay_alu instid0(VALU_DEP_1) | instskip(NEXT) | instid1(VALU_DEP_1)
	v_mul_f32_e32 v72, v71, v70
	v_fma_f32 v73, -v63, v72, v71
	s_delay_alu instid0(VALU_DEP_1) | instskip(NEXT) | instid1(VALU_DEP_1)
	v_fmac_f32_e32 v72, v73, v70
	v_fma_f32 v63, -v63, v72, v71
	s_delay_alu instid0(VALU_DEP_1) | instskip(NEXT) | instid1(VALU_DEP_1)
	v_div_fmas_f32 v63, v63, v70, v72
	v_div_fixup_f32 v62, v63, v62, 1.0
.LBB3_9:
	s_or_b32 exec_lo, exec_lo, s2
	s_delay_alu instid0(SALU_CYCLE_1)
	s_mov_b32 s2, exec_lo
	v_cmpx_o_f32_e32 v56, v56
	s_cbranch_execz .LBB3_11
; %bb.10:
	v_mul_f32_e32 v61, 0xbfb8aa3b, v56
	v_cmp_nlt_f32_e32 vcc_lo, 0x42ce8ed0, v56
	s_delay_alu instid0(VALU_DEP_2) | instskip(SKIP_1) | instid1(VALU_DEP_1)
	v_rndne_f32_e32 v63, v61
	v_fma_f32 v70, 0xbfb8aa3b, v56, -v61
	v_dual_sub_f32 v61, v61, v63 :: v_dual_fmamk_f32 v70, v56, 0xb2a5705f, v70
	v_cvt_i32_f32_e32 v63, v63
	s_delay_alu instid0(VALU_DEP_2) | instskip(NEXT) | instid1(VALU_DEP_1)
	v_add_f32_e32 v61, v61, v70
	v_exp_f32_e32 v61, v61
	s_waitcnt_depctr 0xfff
	v_ldexp_f32 v61, v61, v63
	s_delay_alu instid0(VALU_DEP_1) | instskip(SKIP_1) | instid1(VALU_DEP_2)
	v_cndmask_b32_e32 v61, 0, v61, vcc_lo
	v_cmp_ngt_f32_e32 vcc_lo, 0xc2b17218, v56
	v_cndmask_b32_e32 v56, 0x7f800000, v61, vcc_lo
	s_delay_alu instid0(VALU_DEP_1) | instskip(NEXT) | instid1(VALU_DEP_1)
	v_add_f32_e32 v56, 1.0, v56
	v_div_scale_f32 v61, null, v56, v56, 1.0
	s_delay_alu instid0(VALU_DEP_1) | instskip(SKIP_2) | instid1(VALU_DEP_1)
	v_rcp_f32_e32 v63, v61
	s_waitcnt_depctr 0xfff
	v_fma_f32 v70, -v61, v63, 1.0
	v_fmac_f32_e32 v63, v70, v63
	v_div_scale_f32 v70, vcc_lo, 1.0, v56, 1.0
	s_delay_alu instid0(VALU_DEP_1) | instskip(NEXT) | instid1(VALU_DEP_1)
	v_mul_f32_e32 v71, v70, v63
	v_fma_f32 v72, -v61, v71, v70
	s_delay_alu instid0(VALU_DEP_1) | instskip(NEXT) | instid1(VALU_DEP_1)
	v_fmac_f32_e32 v71, v72, v63
	v_fma_f32 v61, -v61, v71, v70
	s_delay_alu instid0(VALU_DEP_1) | instskip(NEXT) | instid1(VALU_DEP_1)
	v_div_fmas_f32 v61, v61, v63, v71
	v_div_fixup_f32 v61, v61, v56, 1.0
.LBB3_11:
	s_or_b32 exec_lo, exec_lo, s2
	v_dual_mov_b32 v56, 0 :: v_dual_mov_b32 v63, 0
	s_mov_b32 s2, exec_lo
	v_cmpx_o_f32_e32 v57, v57
	s_cbranch_execz .LBB3_13
; %bb.12:
	v_mul_f32_e32 v63, 0xbfb8aa3b, v57
	v_cmp_nlt_f32_e32 vcc_lo, 0x42ce8ed0, v57
	s_delay_alu instid0(VALU_DEP_2) | instskip(SKIP_1) | instid1(VALU_DEP_2)
	v_rndne_f32_e32 v70, v63
	v_fma_f32 v71, 0xbfb8aa3b, v57, -v63
	v_sub_f32_e32 v63, v63, v70
	s_delay_alu instid0(VALU_DEP_2) | instskip(SKIP_1) | instid1(VALU_DEP_2)
	v_fmamk_f32 v71, v57, 0xb2a5705f, v71
	v_cvt_i32_f32_e32 v70, v70
	v_add_f32_e32 v63, v63, v71
	s_delay_alu instid0(VALU_DEP_1) | instskip(SKIP_2) | instid1(VALU_DEP_1)
	v_exp_f32_e32 v63, v63
	s_waitcnt_depctr 0xfff
	v_ldexp_f32 v63, v63, v70
	v_cndmask_b32_e32 v63, 0, v63, vcc_lo
	v_cmp_ngt_f32_e32 vcc_lo, 0xc2b17218, v57
	s_delay_alu instid0(VALU_DEP_2) | instskip(NEXT) | instid1(VALU_DEP_1)
	v_cndmask_b32_e32 v57, 0x7f800000, v63, vcc_lo
	v_add_f32_e32 v57, 1.0, v57
	s_delay_alu instid0(VALU_DEP_1) | instskip(NEXT) | instid1(VALU_DEP_1)
	v_div_scale_f32 v63, null, v57, v57, 1.0
	v_rcp_f32_e32 v70, v63
	s_waitcnt_depctr 0xfff
	v_fma_f32 v71, -v63, v70, 1.0
	s_delay_alu instid0(VALU_DEP_1) | instskip(SKIP_1) | instid1(VALU_DEP_1)
	v_fmac_f32_e32 v70, v71, v70
	v_div_scale_f32 v71, vcc_lo, 1.0, v57, 1.0
	v_mul_f32_e32 v72, v71, v70
	s_delay_alu instid0(VALU_DEP_1) | instskip(NEXT) | instid1(VALU_DEP_1)
	v_fma_f32 v73, -v63, v72, v71
	v_fmac_f32_e32 v72, v73, v70
	s_delay_alu instid0(VALU_DEP_1) | instskip(NEXT) | instid1(VALU_DEP_1)
	v_fma_f32 v63, -v63, v72, v71
	v_div_fmas_f32 v63, v63, v70, v72
	s_delay_alu instid0(VALU_DEP_1)
	v_div_fixup_f32 v63, v63, v57, 1.0
.LBB3_13:
	s_or_b32 exec_lo, exec_lo, s2
	s_delay_alu instid0(SALU_CYCLE_1)
	s_mov_b32 s2, exec_lo
	v_cmpx_o_f32_e32 v58, v58
	s_cbranch_execz .LBB3_15
; %bb.14:
	v_mul_f32_e32 v56, 0xbfb8aa3b, v58
	v_cmp_nlt_f32_e32 vcc_lo, 0x42ce8ed0, v58
	s_delay_alu instid0(VALU_DEP_2) | instskip(SKIP_1) | instid1(VALU_DEP_2)
	v_rndne_f32_e32 v57, v56
	v_fma_f32 v70, 0xbfb8aa3b, v58, -v56
	v_sub_f32_e32 v56, v56, v57
	s_delay_alu instid0(VALU_DEP_2) | instskip(SKIP_1) | instid1(VALU_DEP_2)
	v_fmamk_f32 v70, v58, 0xb2a5705f, v70
	v_cvt_i32_f32_e32 v57, v57
	v_add_f32_e32 v56, v56, v70
	s_delay_alu instid0(VALU_DEP_1) | instskip(SKIP_2) | instid1(VALU_DEP_1)
	v_exp_f32_e32 v56, v56
	s_waitcnt_depctr 0xfff
	v_ldexp_f32 v56, v56, v57
	v_cndmask_b32_e32 v56, 0, v56, vcc_lo
	v_cmp_ngt_f32_e32 vcc_lo, 0xc2b17218, v58
	s_delay_alu instid0(VALU_DEP_2) | instskip(NEXT) | instid1(VALU_DEP_1)
	v_cndmask_b32_e32 v56, 0x7f800000, v56, vcc_lo
	v_add_f32_e32 v56, 1.0, v56
	s_delay_alu instid0(VALU_DEP_1) | instskip(NEXT) | instid1(VALU_DEP_1)
	v_div_scale_f32 v57, null, v56, v56, 1.0
	v_rcp_f32_e32 v58, v57
	s_waitcnt_depctr 0xfff
	v_fma_f32 v70, -v57, v58, 1.0
	s_delay_alu instid0(VALU_DEP_1) | instskip(SKIP_1) | instid1(VALU_DEP_1)
	v_fmac_f32_e32 v58, v70, v58
	v_div_scale_f32 v70, vcc_lo, 1.0, v56, 1.0
	v_mul_f32_e32 v71, v70, v58
	s_delay_alu instid0(VALU_DEP_1) | instskip(NEXT) | instid1(VALU_DEP_1)
	v_fma_f32 v72, -v57, v71, v70
	v_fmac_f32_e32 v71, v72, v58
	s_delay_alu instid0(VALU_DEP_1) | instskip(NEXT) | instid1(VALU_DEP_1)
	v_fma_f32 v57, -v57, v71, v70
	v_div_fmas_f32 v57, v57, v58, v71
	s_delay_alu instid0(VALU_DEP_1)
	v_div_fixup_f32 v56, v57, v56, 1.0
.LBB3_15:
	s_or_b32 exec_lo, exec_lo, s2
	v_dual_mov_b32 v57, 0 :: v_dual_mov_b32 v58, 0
	s_mov_b32 s2, exec_lo
	v_cmpx_o_f32_e32 v59, v59
	s_cbranch_execz .LBB3_17
; %bb.16:
	v_mul_f32_e32 v58, 0xbfb8aa3b, v59
	v_cmp_nlt_f32_e32 vcc_lo, 0x42ce8ed0, v59
	s_delay_alu instid0(VALU_DEP_2) | instskip(SKIP_1) | instid1(VALU_DEP_1)
	v_rndne_f32_e32 v70, v58
	v_fma_f32 v71, 0xbfb8aa3b, v59, -v58
	v_dual_sub_f32 v58, v58, v70 :: v_dual_fmamk_f32 v71, v59, 0xb2a5705f, v71
	v_cvt_i32_f32_e32 v70, v70
	s_delay_alu instid0(VALU_DEP_2) | instskip(NEXT) | instid1(VALU_DEP_1)
	v_add_f32_e32 v58, v58, v71
	v_exp_f32_e32 v58, v58
	s_waitcnt_depctr 0xfff
	v_ldexp_f32 v58, v58, v70
	s_delay_alu instid0(VALU_DEP_1) | instskip(SKIP_1) | instid1(VALU_DEP_2)
	v_cndmask_b32_e32 v58, 0, v58, vcc_lo
	v_cmp_ngt_f32_e32 vcc_lo, 0xc2b17218, v59
	v_cndmask_b32_e32 v58, 0x7f800000, v58, vcc_lo
	s_delay_alu instid0(VALU_DEP_1) | instskip(NEXT) | instid1(VALU_DEP_1)
	v_add_f32_e32 v58, 1.0, v58
	v_div_scale_f32 v59, null, v58, v58, 1.0
	s_delay_alu instid0(VALU_DEP_1) | instskip(SKIP_2) | instid1(VALU_DEP_1)
	v_rcp_f32_e32 v70, v59
	s_waitcnt_depctr 0xfff
	v_fma_f32 v71, -v59, v70, 1.0
	v_fmac_f32_e32 v70, v71, v70
	v_div_scale_f32 v71, vcc_lo, 1.0, v58, 1.0
	s_delay_alu instid0(VALU_DEP_1) | instskip(NEXT) | instid1(VALU_DEP_1)
	v_mul_f32_e32 v72, v71, v70
	v_fma_f32 v73, -v59, v72, v71
	s_delay_alu instid0(VALU_DEP_1) | instskip(NEXT) | instid1(VALU_DEP_1)
	v_fmac_f32_e32 v72, v73, v70
	v_fma_f32 v59, -v59, v72, v71
	s_delay_alu instid0(VALU_DEP_1) | instskip(NEXT) | instid1(VALU_DEP_1)
	v_div_fmas_f32 v59, v59, v70, v72
	v_div_fixup_f32 v58, v59, v58, 1.0
.LBB3_17:
	s_or_b32 exec_lo, exec_lo, s2
	s_delay_alu instid0(SALU_CYCLE_1)
	s_mov_b32 s2, exec_lo
	v_cmpx_o_f32_e32 v52, v52
	s_cbranch_execz .LBB3_19
; %bb.18:
	v_mul_f32_e32 v57, 0xbfb8aa3b, v52
	v_cmp_nlt_f32_e32 vcc_lo, 0x42ce8ed0, v52
	s_delay_alu instid0(VALU_DEP_2) | instskip(SKIP_1) | instid1(VALU_DEP_1)
	v_rndne_f32_e32 v59, v57
	v_fma_f32 v70, 0xbfb8aa3b, v52, -v57
	v_dual_sub_f32 v57, v57, v59 :: v_dual_fmamk_f32 v70, v52, 0xb2a5705f, v70
	v_cvt_i32_f32_e32 v59, v59
	s_delay_alu instid0(VALU_DEP_2) | instskip(NEXT) | instid1(VALU_DEP_1)
	v_add_f32_e32 v57, v57, v70
	v_exp_f32_e32 v57, v57
	s_waitcnt_depctr 0xfff
	v_ldexp_f32 v57, v57, v59
	s_delay_alu instid0(VALU_DEP_1) | instskip(SKIP_1) | instid1(VALU_DEP_2)
	v_cndmask_b32_e32 v57, 0, v57, vcc_lo
	v_cmp_ngt_f32_e32 vcc_lo, 0xc2b17218, v52
	v_cndmask_b32_e32 v52, 0x7f800000, v57, vcc_lo
	s_delay_alu instid0(VALU_DEP_1) | instskip(NEXT) | instid1(VALU_DEP_1)
	v_add_f32_e32 v52, 1.0, v52
	v_div_scale_f32 v57, null, v52, v52, 1.0
	s_delay_alu instid0(VALU_DEP_1) | instskip(SKIP_2) | instid1(VALU_DEP_1)
	v_rcp_f32_e32 v59, v57
	s_waitcnt_depctr 0xfff
	v_fma_f32 v70, -v57, v59, 1.0
	v_fmac_f32_e32 v59, v70, v59
	v_div_scale_f32 v70, vcc_lo, 1.0, v52, 1.0
	s_delay_alu instid0(VALU_DEP_1) | instskip(NEXT) | instid1(VALU_DEP_1)
	v_mul_f32_e32 v71, v70, v59
	v_fma_f32 v72, -v57, v71, v70
	s_delay_alu instid0(VALU_DEP_1) | instskip(NEXT) | instid1(VALU_DEP_1)
	v_fmac_f32_e32 v71, v72, v59
	v_fma_f32 v57, -v57, v71, v70
	s_delay_alu instid0(VALU_DEP_1) | instskip(NEXT) | instid1(VALU_DEP_1)
	v_div_fmas_f32 v57, v57, v59, v71
	v_div_fixup_f32 v57, v57, v52, 1.0
.LBB3_19:
	s_or_b32 exec_lo, exec_lo, s2
	v_dual_mov_b32 v52, 0 :: v_dual_mov_b32 v59, 0
	s_mov_b32 s2, exec_lo
	v_cmpx_o_f32_e32 v53, v53
	s_cbranch_execz .LBB3_21
; %bb.20:
	v_mul_f32_e32 v59, 0xbfb8aa3b, v53
	v_cmp_nlt_f32_e32 vcc_lo, 0x42ce8ed0, v53
	s_delay_alu instid0(VALU_DEP_2) | instskip(SKIP_1) | instid1(VALU_DEP_2)
	v_rndne_f32_e32 v70, v59
	v_fma_f32 v71, 0xbfb8aa3b, v53, -v59
	v_sub_f32_e32 v59, v59, v70
	s_delay_alu instid0(VALU_DEP_2) | instskip(SKIP_1) | instid1(VALU_DEP_2)
	v_fmamk_f32 v71, v53, 0xb2a5705f, v71
	v_cvt_i32_f32_e32 v70, v70
	v_add_f32_e32 v59, v59, v71
	s_delay_alu instid0(VALU_DEP_1) | instskip(SKIP_2) | instid1(VALU_DEP_1)
	v_exp_f32_e32 v59, v59
	s_waitcnt_depctr 0xfff
	v_ldexp_f32 v59, v59, v70
	v_cndmask_b32_e32 v59, 0, v59, vcc_lo
	v_cmp_ngt_f32_e32 vcc_lo, 0xc2b17218, v53
	s_delay_alu instid0(VALU_DEP_2) | instskip(NEXT) | instid1(VALU_DEP_1)
	v_cndmask_b32_e32 v53, 0x7f800000, v59, vcc_lo
	v_add_f32_e32 v53, 1.0, v53
	s_delay_alu instid0(VALU_DEP_1) | instskip(NEXT) | instid1(VALU_DEP_1)
	v_div_scale_f32 v59, null, v53, v53, 1.0
	v_rcp_f32_e32 v70, v59
	s_waitcnt_depctr 0xfff
	v_fma_f32 v71, -v59, v70, 1.0
	s_delay_alu instid0(VALU_DEP_1) | instskip(SKIP_1) | instid1(VALU_DEP_1)
	v_fmac_f32_e32 v70, v71, v70
	v_div_scale_f32 v71, vcc_lo, 1.0, v53, 1.0
	v_mul_f32_e32 v72, v71, v70
	s_delay_alu instid0(VALU_DEP_1) | instskip(NEXT) | instid1(VALU_DEP_1)
	v_fma_f32 v73, -v59, v72, v71
	v_fmac_f32_e32 v72, v73, v70
	s_delay_alu instid0(VALU_DEP_1) | instskip(NEXT) | instid1(VALU_DEP_1)
	v_fma_f32 v59, -v59, v72, v71
	v_div_fmas_f32 v59, v59, v70, v72
	s_delay_alu instid0(VALU_DEP_1)
	v_div_fixup_f32 v59, v59, v53, 1.0
.LBB3_21:
	s_or_b32 exec_lo, exec_lo, s2
	s_delay_alu instid0(SALU_CYCLE_1)
	s_mov_b32 s2, exec_lo
	v_cmpx_o_f32_e32 v54, v54
	s_cbranch_execz .LBB3_23
; %bb.22:
	v_mul_f32_e32 v52, 0xbfb8aa3b, v54
	v_cmp_nlt_f32_e32 vcc_lo, 0x42ce8ed0, v54
	s_delay_alu instid0(VALU_DEP_2) | instskip(SKIP_1) | instid1(VALU_DEP_2)
	v_rndne_f32_e32 v53, v52
	v_fma_f32 v70, 0xbfb8aa3b, v54, -v52
	v_sub_f32_e32 v52, v52, v53
	s_delay_alu instid0(VALU_DEP_2) | instskip(SKIP_1) | instid1(VALU_DEP_2)
	v_fmamk_f32 v70, v54, 0xb2a5705f, v70
	v_cvt_i32_f32_e32 v53, v53
	v_add_f32_e32 v52, v52, v70
	s_delay_alu instid0(VALU_DEP_1) | instskip(SKIP_2) | instid1(VALU_DEP_1)
	v_exp_f32_e32 v52, v52
	s_waitcnt_depctr 0xfff
	v_ldexp_f32 v52, v52, v53
	v_cndmask_b32_e32 v52, 0, v52, vcc_lo
	v_cmp_ngt_f32_e32 vcc_lo, 0xc2b17218, v54
	s_delay_alu instid0(VALU_DEP_2) | instskip(NEXT) | instid1(VALU_DEP_1)
	v_cndmask_b32_e32 v52, 0x7f800000, v52, vcc_lo
	v_add_f32_e32 v52, 1.0, v52
	s_delay_alu instid0(VALU_DEP_1) | instskip(NEXT) | instid1(VALU_DEP_1)
	v_div_scale_f32 v53, null, v52, v52, 1.0
	v_rcp_f32_e32 v54, v53
	s_waitcnt_depctr 0xfff
	v_fma_f32 v70, -v53, v54, 1.0
	s_delay_alu instid0(VALU_DEP_1) | instskip(SKIP_1) | instid1(VALU_DEP_1)
	v_fmac_f32_e32 v54, v70, v54
	v_div_scale_f32 v70, vcc_lo, 1.0, v52, 1.0
	v_mul_f32_e32 v71, v70, v54
	s_delay_alu instid0(VALU_DEP_1) | instskip(NEXT) | instid1(VALU_DEP_1)
	v_fma_f32 v72, -v53, v71, v70
	v_fmac_f32_e32 v71, v72, v54
	s_delay_alu instid0(VALU_DEP_1) | instskip(NEXT) | instid1(VALU_DEP_1)
	v_fma_f32 v53, -v53, v71, v70
	v_div_fmas_f32 v53, v53, v54, v71
	s_delay_alu instid0(VALU_DEP_1)
	v_div_fixup_f32 v52, v53, v52, 1.0
.LBB3_23:
	s_or_b32 exec_lo, exec_lo, s2
	v_dual_mov_b32 v53, 0 :: v_dual_mov_b32 v54, 0
	s_mov_b32 s2, exec_lo
	v_cmpx_o_f32_e32 v55, v55
	s_cbranch_execz .LBB3_25
; %bb.24:
	v_mul_f32_e32 v54, 0xbfb8aa3b, v55
	v_cmp_nlt_f32_e32 vcc_lo, 0x42ce8ed0, v55
	s_delay_alu instid0(VALU_DEP_2) | instskip(SKIP_1) | instid1(VALU_DEP_1)
	v_rndne_f32_e32 v70, v54
	v_fma_f32 v71, 0xbfb8aa3b, v55, -v54
	v_dual_sub_f32 v54, v54, v70 :: v_dual_fmamk_f32 v71, v55, 0xb2a5705f, v71
	v_cvt_i32_f32_e32 v70, v70
	s_delay_alu instid0(VALU_DEP_2) | instskip(NEXT) | instid1(VALU_DEP_1)
	v_add_f32_e32 v54, v54, v71
	v_exp_f32_e32 v54, v54
	s_waitcnt_depctr 0xfff
	v_ldexp_f32 v54, v54, v70
	s_delay_alu instid0(VALU_DEP_1) | instskip(SKIP_1) | instid1(VALU_DEP_2)
	v_cndmask_b32_e32 v54, 0, v54, vcc_lo
	v_cmp_ngt_f32_e32 vcc_lo, 0xc2b17218, v55
	v_cndmask_b32_e32 v54, 0x7f800000, v54, vcc_lo
	s_delay_alu instid0(VALU_DEP_1) | instskip(NEXT) | instid1(VALU_DEP_1)
	v_add_f32_e32 v54, 1.0, v54
	v_div_scale_f32 v55, null, v54, v54, 1.0
	s_delay_alu instid0(VALU_DEP_1) | instskip(SKIP_2) | instid1(VALU_DEP_1)
	v_rcp_f32_e32 v70, v55
	s_waitcnt_depctr 0xfff
	v_fma_f32 v71, -v55, v70, 1.0
	v_fmac_f32_e32 v70, v71, v70
	v_div_scale_f32 v71, vcc_lo, 1.0, v54, 1.0
	s_delay_alu instid0(VALU_DEP_1) | instskip(NEXT) | instid1(VALU_DEP_1)
	v_mul_f32_e32 v72, v71, v70
	v_fma_f32 v73, -v55, v72, v71
	s_delay_alu instid0(VALU_DEP_1) | instskip(NEXT) | instid1(VALU_DEP_1)
	v_fmac_f32_e32 v72, v73, v70
	v_fma_f32 v55, -v55, v72, v71
	s_delay_alu instid0(VALU_DEP_1) | instskip(NEXT) | instid1(VALU_DEP_1)
	v_div_fmas_f32 v55, v55, v70, v72
	v_div_fixup_f32 v54, v55, v54, 1.0
.LBB3_25:
	s_or_b32 exec_lo, exec_lo, s2
	s_delay_alu instid0(SALU_CYCLE_1)
	s_mov_b32 s2, exec_lo
	v_cmpx_o_f32_e32 v48, v48
	s_cbranch_execz .LBB3_27
; %bb.26:
	v_mul_f32_e32 v53, 0xbfb8aa3b, v48
	v_cmp_nlt_f32_e32 vcc_lo, 0x42ce8ed0, v48
	s_delay_alu instid0(VALU_DEP_2) | instskip(SKIP_1) | instid1(VALU_DEP_1)
	v_rndne_f32_e32 v55, v53
	v_fma_f32 v70, 0xbfb8aa3b, v48, -v53
	v_dual_sub_f32 v53, v53, v55 :: v_dual_fmamk_f32 v70, v48, 0xb2a5705f, v70
	v_cvt_i32_f32_e32 v55, v55
	s_delay_alu instid0(VALU_DEP_2) | instskip(NEXT) | instid1(VALU_DEP_1)
	v_add_f32_e32 v53, v53, v70
	v_exp_f32_e32 v53, v53
	s_waitcnt_depctr 0xfff
	v_ldexp_f32 v53, v53, v55
	s_delay_alu instid0(VALU_DEP_1) | instskip(SKIP_1) | instid1(VALU_DEP_2)
	v_cndmask_b32_e32 v53, 0, v53, vcc_lo
	v_cmp_ngt_f32_e32 vcc_lo, 0xc2b17218, v48
	v_cndmask_b32_e32 v48, 0x7f800000, v53, vcc_lo
	s_delay_alu instid0(VALU_DEP_1) | instskip(NEXT) | instid1(VALU_DEP_1)
	v_add_f32_e32 v48, 1.0, v48
	v_div_scale_f32 v53, null, v48, v48, 1.0
	s_delay_alu instid0(VALU_DEP_1) | instskip(SKIP_2) | instid1(VALU_DEP_1)
	v_rcp_f32_e32 v55, v53
	s_waitcnt_depctr 0xfff
	v_fma_f32 v70, -v53, v55, 1.0
	v_fmac_f32_e32 v55, v70, v55
	v_div_scale_f32 v70, vcc_lo, 1.0, v48, 1.0
	s_delay_alu instid0(VALU_DEP_1) | instskip(NEXT) | instid1(VALU_DEP_1)
	v_mul_f32_e32 v71, v70, v55
	v_fma_f32 v72, -v53, v71, v70
	s_delay_alu instid0(VALU_DEP_1) | instskip(NEXT) | instid1(VALU_DEP_1)
	v_fmac_f32_e32 v71, v72, v55
	v_fma_f32 v53, -v53, v71, v70
	s_delay_alu instid0(VALU_DEP_1) | instskip(NEXT) | instid1(VALU_DEP_1)
	v_div_fmas_f32 v53, v53, v55, v71
	v_div_fixup_f32 v53, v53, v48, 1.0
.LBB3_27:
	s_or_b32 exec_lo, exec_lo, s2
	v_dual_mov_b32 v48, 0 :: v_dual_mov_b32 v55, 0
	s_mov_b32 s2, exec_lo
	v_cmpx_o_f32_e32 v49, v49
	s_cbranch_execz .LBB3_29
; %bb.28:
	v_mul_f32_e32 v55, 0xbfb8aa3b, v49
	v_cmp_nlt_f32_e32 vcc_lo, 0x42ce8ed0, v49
	s_delay_alu instid0(VALU_DEP_2) | instskip(SKIP_1) | instid1(VALU_DEP_2)
	v_rndne_f32_e32 v70, v55
	v_fma_f32 v71, 0xbfb8aa3b, v49, -v55
	v_sub_f32_e32 v55, v55, v70
	s_delay_alu instid0(VALU_DEP_2) | instskip(SKIP_1) | instid1(VALU_DEP_2)
	v_fmamk_f32 v71, v49, 0xb2a5705f, v71
	v_cvt_i32_f32_e32 v70, v70
	v_add_f32_e32 v55, v55, v71
	s_delay_alu instid0(VALU_DEP_1) | instskip(SKIP_2) | instid1(VALU_DEP_1)
	v_exp_f32_e32 v55, v55
	s_waitcnt_depctr 0xfff
	v_ldexp_f32 v55, v55, v70
	v_cndmask_b32_e32 v55, 0, v55, vcc_lo
	v_cmp_ngt_f32_e32 vcc_lo, 0xc2b17218, v49
	s_delay_alu instid0(VALU_DEP_2) | instskip(NEXT) | instid1(VALU_DEP_1)
	v_cndmask_b32_e32 v49, 0x7f800000, v55, vcc_lo
	v_add_f32_e32 v49, 1.0, v49
	s_delay_alu instid0(VALU_DEP_1) | instskip(NEXT) | instid1(VALU_DEP_1)
	v_div_scale_f32 v55, null, v49, v49, 1.0
	v_rcp_f32_e32 v70, v55
	s_waitcnt_depctr 0xfff
	v_fma_f32 v71, -v55, v70, 1.0
	s_delay_alu instid0(VALU_DEP_1) | instskip(SKIP_1) | instid1(VALU_DEP_1)
	v_fmac_f32_e32 v70, v71, v70
	v_div_scale_f32 v71, vcc_lo, 1.0, v49, 1.0
	v_mul_f32_e32 v72, v71, v70
	s_delay_alu instid0(VALU_DEP_1) | instskip(NEXT) | instid1(VALU_DEP_1)
	v_fma_f32 v73, -v55, v72, v71
	v_fmac_f32_e32 v72, v73, v70
	s_delay_alu instid0(VALU_DEP_1) | instskip(NEXT) | instid1(VALU_DEP_1)
	v_fma_f32 v55, -v55, v72, v71
	v_div_fmas_f32 v55, v55, v70, v72
	s_delay_alu instid0(VALU_DEP_1)
	v_div_fixup_f32 v55, v55, v49, 1.0
.LBB3_29:
	s_or_b32 exec_lo, exec_lo, s2
	s_delay_alu instid0(SALU_CYCLE_1)
	s_mov_b32 s2, exec_lo
	v_cmpx_o_f32_e32 v50, v50
	s_cbranch_execz .LBB3_31
; %bb.30:
	v_mul_f32_e32 v48, 0xbfb8aa3b, v50
	v_cmp_nlt_f32_e32 vcc_lo, 0x42ce8ed0, v50
	s_delay_alu instid0(VALU_DEP_2) | instskip(SKIP_1) | instid1(VALU_DEP_2)
	v_rndne_f32_e32 v49, v48
	v_fma_f32 v70, 0xbfb8aa3b, v50, -v48
	v_sub_f32_e32 v48, v48, v49
	s_delay_alu instid0(VALU_DEP_2) | instskip(SKIP_1) | instid1(VALU_DEP_2)
	v_fmamk_f32 v70, v50, 0xb2a5705f, v70
	v_cvt_i32_f32_e32 v49, v49
	v_add_f32_e32 v48, v48, v70
	s_delay_alu instid0(VALU_DEP_1) | instskip(SKIP_2) | instid1(VALU_DEP_1)
	v_exp_f32_e32 v48, v48
	s_waitcnt_depctr 0xfff
	v_ldexp_f32 v48, v48, v49
	v_cndmask_b32_e32 v48, 0, v48, vcc_lo
	v_cmp_ngt_f32_e32 vcc_lo, 0xc2b17218, v50
	s_delay_alu instid0(VALU_DEP_2) | instskip(NEXT) | instid1(VALU_DEP_1)
	v_cndmask_b32_e32 v48, 0x7f800000, v48, vcc_lo
	v_add_f32_e32 v48, 1.0, v48
	s_delay_alu instid0(VALU_DEP_1) | instskip(NEXT) | instid1(VALU_DEP_1)
	v_div_scale_f32 v49, null, v48, v48, 1.0
	v_rcp_f32_e32 v50, v49
	s_waitcnt_depctr 0xfff
	v_fma_f32 v70, -v49, v50, 1.0
	s_delay_alu instid0(VALU_DEP_1) | instskip(SKIP_1) | instid1(VALU_DEP_1)
	v_fmac_f32_e32 v50, v70, v50
	v_div_scale_f32 v70, vcc_lo, 1.0, v48, 1.0
	v_mul_f32_e32 v71, v70, v50
	s_delay_alu instid0(VALU_DEP_1) | instskip(NEXT) | instid1(VALU_DEP_1)
	v_fma_f32 v72, -v49, v71, v70
	v_fmac_f32_e32 v71, v72, v50
	s_delay_alu instid0(VALU_DEP_1) | instskip(NEXT) | instid1(VALU_DEP_1)
	v_fma_f32 v49, -v49, v71, v70
	v_div_fmas_f32 v49, v49, v50, v71
	s_delay_alu instid0(VALU_DEP_1)
	v_div_fixup_f32 v48, v49, v48, 1.0
.LBB3_31:
	s_or_b32 exec_lo, exec_lo, s2
	v_dual_mov_b32 v49, 0 :: v_dual_mov_b32 v50, 0
	s_mov_b32 s2, exec_lo
	v_cmpx_o_f32_e32 v51, v51
	s_cbranch_execz .LBB3_33
; %bb.32:
	v_mul_f32_e32 v50, 0xbfb8aa3b, v51
	v_cmp_nlt_f32_e32 vcc_lo, 0x42ce8ed0, v51
	s_delay_alu instid0(VALU_DEP_2) | instskip(SKIP_1) | instid1(VALU_DEP_1)
	v_rndne_f32_e32 v70, v50
	v_fma_f32 v71, 0xbfb8aa3b, v51, -v50
	v_dual_sub_f32 v50, v50, v70 :: v_dual_fmamk_f32 v71, v51, 0xb2a5705f, v71
	v_cvt_i32_f32_e32 v70, v70
	s_delay_alu instid0(VALU_DEP_2) | instskip(NEXT) | instid1(VALU_DEP_1)
	v_add_f32_e32 v50, v50, v71
	v_exp_f32_e32 v50, v50
	s_waitcnt_depctr 0xfff
	v_ldexp_f32 v50, v50, v70
	s_delay_alu instid0(VALU_DEP_1) | instskip(SKIP_1) | instid1(VALU_DEP_2)
	v_cndmask_b32_e32 v50, 0, v50, vcc_lo
	v_cmp_ngt_f32_e32 vcc_lo, 0xc2b17218, v51
	v_cndmask_b32_e32 v50, 0x7f800000, v50, vcc_lo
	s_delay_alu instid0(VALU_DEP_1) | instskip(NEXT) | instid1(VALU_DEP_1)
	v_add_f32_e32 v50, 1.0, v50
	v_div_scale_f32 v51, null, v50, v50, 1.0
	s_delay_alu instid0(VALU_DEP_1) | instskip(SKIP_2) | instid1(VALU_DEP_1)
	v_rcp_f32_e32 v70, v51
	s_waitcnt_depctr 0xfff
	v_fma_f32 v71, -v51, v70, 1.0
	v_fmac_f32_e32 v70, v71, v70
	v_div_scale_f32 v71, vcc_lo, 1.0, v50, 1.0
	s_delay_alu instid0(VALU_DEP_1) | instskip(NEXT) | instid1(VALU_DEP_1)
	v_mul_f32_e32 v72, v71, v70
	v_fma_f32 v73, -v51, v72, v71
	s_delay_alu instid0(VALU_DEP_1) | instskip(NEXT) | instid1(VALU_DEP_1)
	v_fmac_f32_e32 v72, v73, v70
	v_fma_f32 v51, -v51, v72, v71
	s_delay_alu instid0(VALU_DEP_1) | instskip(NEXT) | instid1(VALU_DEP_1)
	v_div_fmas_f32 v51, v51, v70, v72
	v_div_fixup_f32 v50, v51, v50, 1.0
.LBB3_33:
	s_or_b32 exec_lo, exec_lo, s2
	s_delay_alu instid0(SALU_CYCLE_1)
	s_mov_b32 s2, exec_lo
	v_cmpx_o_f32_e32 v44, v44
	s_cbranch_execz .LBB3_35
; %bb.34:
	v_mul_f32_e32 v49, 0xbfb8aa3b, v44
	v_cmp_nlt_f32_e32 vcc_lo, 0x42ce8ed0, v44
	s_delay_alu instid0(VALU_DEP_2) | instskip(SKIP_1) | instid1(VALU_DEP_1)
	v_rndne_f32_e32 v51, v49
	v_fma_f32 v70, 0xbfb8aa3b, v44, -v49
	v_dual_sub_f32 v49, v49, v51 :: v_dual_fmamk_f32 v70, v44, 0xb2a5705f, v70
	v_cvt_i32_f32_e32 v51, v51
	s_delay_alu instid0(VALU_DEP_2) | instskip(NEXT) | instid1(VALU_DEP_1)
	v_add_f32_e32 v49, v49, v70
	v_exp_f32_e32 v49, v49
	s_waitcnt_depctr 0xfff
	v_ldexp_f32 v49, v49, v51
	s_delay_alu instid0(VALU_DEP_1) | instskip(SKIP_1) | instid1(VALU_DEP_2)
	v_cndmask_b32_e32 v49, 0, v49, vcc_lo
	v_cmp_ngt_f32_e32 vcc_lo, 0xc2b17218, v44
	v_cndmask_b32_e32 v44, 0x7f800000, v49, vcc_lo
	s_delay_alu instid0(VALU_DEP_1) | instskip(NEXT) | instid1(VALU_DEP_1)
	v_add_f32_e32 v44, 1.0, v44
	v_div_scale_f32 v49, null, v44, v44, 1.0
	s_delay_alu instid0(VALU_DEP_1) | instskip(SKIP_2) | instid1(VALU_DEP_1)
	v_rcp_f32_e32 v51, v49
	s_waitcnt_depctr 0xfff
	v_fma_f32 v70, -v49, v51, 1.0
	v_fmac_f32_e32 v51, v70, v51
	v_div_scale_f32 v70, vcc_lo, 1.0, v44, 1.0
	s_delay_alu instid0(VALU_DEP_1) | instskip(NEXT) | instid1(VALU_DEP_1)
	v_mul_f32_e32 v71, v70, v51
	v_fma_f32 v72, -v49, v71, v70
	s_delay_alu instid0(VALU_DEP_1) | instskip(NEXT) | instid1(VALU_DEP_1)
	v_fmac_f32_e32 v71, v72, v51
	v_fma_f32 v49, -v49, v71, v70
	s_delay_alu instid0(VALU_DEP_1) | instskip(NEXT) | instid1(VALU_DEP_1)
	v_div_fmas_f32 v49, v49, v51, v71
	v_div_fixup_f32 v49, v49, v44, 1.0
.LBB3_35:
	s_or_b32 exec_lo, exec_lo, s2
	v_dual_mov_b32 v44, 0 :: v_dual_mov_b32 v51, 0
	s_mov_b32 s2, exec_lo
	v_cmpx_o_f32_e32 v45, v45
	s_cbranch_execz .LBB3_37
; %bb.36:
	v_mul_f32_e32 v51, 0xbfb8aa3b, v45
	v_cmp_nlt_f32_e32 vcc_lo, 0x42ce8ed0, v45
	s_delay_alu instid0(VALU_DEP_2) | instskip(SKIP_1) | instid1(VALU_DEP_2)
	v_rndne_f32_e32 v70, v51
	v_fma_f32 v71, 0xbfb8aa3b, v45, -v51
	v_sub_f32_e32 v51, v51, v70
	s_delay_alu instid0(VALU_DEP_2) | instskip(SKIP_1) | instid1(VALU_DEP_2)
	v_fmamk_f32 v71, v45, 0xb2a5705f, v71
	v_cvt_i32_f32_e32 v70, v70
	v_add_f32_e32 v51, v51, v71
	s_delay_alu instid0(VALU_DEP_1) | instskip(SKIP_2) | instid1(VALU_DEP_1)
	v_exp_f32_e32 v51, v51
	s_waitcnt_depctr 0xfff
	v_ldexp_f32 v51, v51, v70
	v_cndmask_b32_e32 v51, 0, v51, vcc_lo
	v_cmp_ngt_f32_e32 vcc_lo, 0xc2b17218, v45
	s_delay_alu instid0(VALU_DEP_2) | instskip(NEXT) | instid1(VALU_DEP_1)
	v_cndmask_b32_e32 v45, 0x7f800000, v51, vcc_lo
	v_add_f32_e32 v45, 1.0, v45
	s_delay_alu instid0(VALU_DEP_1) | instskip(NEXT) | instid1(VALU_DEP_1)
	v_div_scale_f32 v51, null, v45, v45, 1.0
	v_rcp_f32_e32 v70, v51
	s_waitcnt_depctr 0xfff
	v_fma_f32 v71, -v51, v70, 1.0
	s_delay_alu instid0(VALU_DEP_1) | instskip(SKIP_1) | instid1(VALU_DEP_1)
	v_fmac_f32_e32 v70, v71, v70
	v_div_scale_f32 v71, vcc_lo, 1.0, v45, 1.0
	v_mul_f32_e32 v72, v71, v70
	s_delay_alu instid0(VALU_DEP_1) | instskip(NEXT) | instid1(VALU_DEP_1)
	v_fma_f32 v73, -v51, v72, v71
	v_fmac_f32_e32 v72, v73, v70
	s_delay_alu instid0(VALU_DEP_1) | instskip(NEXT) | instid1(VALU_DEP_1)
	v_fma_f32 v51, -v51, v72, v71
	v_div_fmas_f32 v51, v51, v70, v72
	s_delay_alu instid0(VALU_DEP_1)
	v_div_fixup_f32 v51, v51, v45, 1.0
.LBB3_37:
	s_or_b32 exec_lo, exec_lo, s2
	s_delay_alu instid0(SALU_CYCLE_1)
	s_mov_b32 s2, exec_lo
	v_cmpx_o_f32_e32 v46, v46
	s_cbranch_execz .LBB3_39
; %bb.38:
	v_mul_f32_e32 v44, 0xbfb8aa3b, v46
	v_cmp_nlt_f32_e32 vcc_lo, 0x42ce8ed0, v46
	s_delay_alu instid0(VALU_DEP_2) | instskip(SKIP_1) | instid1(VALU_DEP_2)
	v_rndne_f32_e32 v45, v44
	v_fma_f32 v70, 0xbfb8aa3b, v46, -v44
	v_sub_f32_e32 v44, v44, v45
	s_delay_alu instid0(VALU_DEP_2) | instskip(SKIP_1) | instid1(VALU_DEP_2)
	v_fmamk_f32 v70, v46, 0xb2a5705f, v70
	v_cvt_i32_f32_e32 v45, v45
	v_add_f32_e32 v44, v44, v70
	s_delay_alu instid0(VALU_DEP_1) | instskip(SKIP_2) | instid1(VALU_DEP_1)
	v_exp_f32_e32 v44, v44
	s_waitcnt_depctr 0xfff
	v_ldexp_f32 v44, v44, v45
	v_cndmask_b32_e32 v44, 0, v44, vcc_lo
	v_cmp_ngt_f32_e32 vcc_lo, 0xc2b17218, v46
	s_delay_alu instid0(VALU_DEP_2) | instskip(NEXT) | instid1(VALU_DEP_1)
	v_cndmask_b32_e32 v44, 0x7f800000, v44, vcc_lo
	v_add_f32_e32 v44, 1.0, v44
	s_delay_alu instid0(VALU_DEP_1) | instskip(NEXT) | instid1(VALU_DEP_1)
	v_div_scale_f32 v45, null, v44, v44, 1.0
	v_rcp_f32_e32 v46, v45
	s_waitcnt_depctr 0xfff
	v_fma_f32 v70, -v45, v46, 1.0
	s_delay_alu instid0(VALU_DEP_1) | instskip(SKIP_1) | instid1(VALU_DEP_1)
	v_fmac_f32_e32 v46, v70, v46
	v_div_scale_f32 v70, vcc_lo, 1.0, v44, 1.0
	v_mul_f32_e32 v71, v70, v46
	s_delay_alu instid0(VALU_DEP_1) | instskip(NEXT) | instid1(VALU_DEP_1)
	v_fma_f32 v72, -v45, v71, v70
	v_fmac_f32_e32 v71, v72, v46
	s_delay_alu instid0(VALU_DEP_1) | instskip(NEXT) | instid1(VALU_DEP_1)
	v_fma_f32 v45, -v45, v71, v70
	v_div_fmas_f32 v45, v45, v46, v71
	s_delay_alu instid0(VALU_DEP_1)
	v_div_fixup_f32 v44, v45, v44, 1.0
.LBB3_39:
	s_or_b32 exec_lo, exec_lo, s2
	v_dual_mov_b32 v45, 0 :: v_dual_mov_b32 v46, 0
	s_mov_b32 s2, exec_lo
	v_cmpx_o_f32_e32 v47, v47
	s_cbranch_execz .LBB3_41
; %bb.40:
	v_mul_f32_e32 v46, 0xbfb8aa3b, v47
	v_cmp_nlt_f32_e32 vcc_lo, 0x42ce8ed0, v47
	s_delay_alu instid0(VALU_DEP_2) | instskip(SKIP_1) | instid1(VALU_DEP_1)
	v_rndne_f32_e32 v70, v46
	v_fma_f32 v71, 0xbfb8aa3b, v47, -v46
	v_dual_sub_f32 v46, v46, v70 :: v_dual_fmamk_f32 v71, v47, 0xb2a5705f, v71
	v_cvt_i32_f32_e32 v70, v70
	s_delay_alu instid0(VALU_DEP_2) | instskip(NEXT) | instid1(VALU_DEP_1)
	v_add_f32_e32 v46, v46, v71
	v_exp_f32_e32 v46, v46
	s_waitcnt_depctr 0xfff
	v_ldexp_f32 v46, v46, v70
	s_delay_alu instid0(VALU_DEP_1) | instskip(SKIP_1) | instid1(VALU_DEP_2)
	v_cndmask_b32_e32 v46, 0, v46, vcc_lo
	v_cmp_ngt_f32_e32 vcc_lo, 0xc2b17218, v47
	v_cndmask_b32_e32 v46, 0x7f800000, v46, vcc_lo
	s_delay_alu instid0(VALU_DEP_1) | instskip(NEXT) | instid1(VALU_DEP_1)
	v_add_f32_e32 v46, 1.0, v46
	v_div_scale_f32 v47, null, v46, v46, 1.0
	s_delay_alu instid0(VALU_DEP_1) | instskip(SKIP_2) | instid1(VALU_DEP_1)
	v_rcp_f32_e32 v70, v47
	s_waitcnt_depctr 0xfff
	v_fma_f32 v71, -v47, v70, 1.0
	v_fmac_f32_e32 v70, v71, v70
	v_div_scale_f32 v71, vcc_lo, 1.0, v46, 1.0
	s_delay_alu instid0(VALU_DEP_1) | instskip(NEXT) | instid1(VALU_DEP_1)
	v_mul_f32_e32 v72, v71, v70
	v_fma_f32 v73, -v47, v72, v71
	s_delay_alu instid0(VALU_DEP_1) | instskip(NEXT) | instid1(VALU_DEP_1)
	v_fmac_f32_e32 v72, v73, v70
	v_fma_f32 v47, -v47, v72, v71
	s_delay_alu instid0(VALU_DEP_1) | instskip(NEXT) | instid1(VALU_DEP_1)
	v_div_fmas_f32 v47, v47, v70, v72
	v_div_fixup_f32 v46, v47, v46, 1.0
.LBB3_41:
	s_or_b32 exec_lo, exec_lo, s2
	s_delay_alu instid0(SALU_CYCLE_1)
	s_mov_b32 s2, exec_lo
	v_cmpx_o_f32_e32 v40, v40
	s_cbranch_execz .LBB3_43
; %bb.42:
	v_mul_f32_e32 v45, 0xbfb8aa3b, v40
	v_cmp_nlt_f32_e32 vcc_lo, 0x42ce8ed0, v40
	s_delay_alu instid0(VALU_DEP_2) | instskip(SKIP_1) | instid1(VALU_DEP_1)
	v_rndne_f32_e32 v47, v45
	v_fma_f32 v70, 0xbfb8aa3b, v40, -v45
	v_dual_sub_f32 v45, v45, v47 :: v_dual_fmamk_f32 v70, v40, 0xb2a5705f, v70
	v_cvt_i32_f32_e32 v47, v47
	s_delay_alu instid0(VALU_DEP_2) | instskip(NEXT) | instid1(VALU_DEP_1)
	v_add_f32_e32 v45, v45, v70
	v_exp_f32_e32 v45, v45
	s_waitcnt_depctr 0xfff
	v_ldexp_f32 v45, v45, v47
	s_delay_alu instid0(VALU_DEP_1) | instskip(SKIP_1) | instid1(VALU_DEP_2)
	v_cndmask_b32_e32 v45, 0, v45, vcc_lo
	v_cmp_ngt_f32_e32 vcc_lo, 0xc2b17218, v40
	v_cndmask_b32_e32 v40, 0x7f800000, v45, vcc_lo
	s_delay_alu instid0(VALU_DEP_1) | instskip(NEXT) | instid1(VALU_DEP_1)
	v_add_f32_e32 v40, 1.0, v40
	v_div_scale_f32 v45, null, v40, v40, 1.0
	s_delay_alu instid0(VALU_DEP_1) | instskip(SKIP_2) | instid1(VALU_DEP_1)
	v_rcp_f32_e32 v47, v45
	s_waitcnt_depctr 0xfff
	v_fma_f32 v70, -v45, v47, 1.0
	v_fmac_f32_e32 v47, v70, v47
	v_div_scale_f32 v70, vcc_lo, 1.0, v40, 1.0
	s_delay_alu instid0(VALU_DEP_1) | instskip(NEXT) | instid1(VALU_DEP_1)
	v_mul_f32_e32 v71, v70, v47
	v_fma_f32 v72, -v45, v71, v70
	s_delay_alu instid0(VALU_DEP_1) | instskip(NEXT) | instid1(VALU_DEP_1)
	v_fmac_f32_e32 v71, v72, v47
	v_fma_f32 v45, -v45, v71, v70
	s_delay_alu instid0(VALU_DEP_1) | instskip(NEXT) | instid1(VALU_DEP_1)
	v_div_fmas_f32 v45, v45, v47, v71
	v_div_fixup_f32 v45, v45, v40, 1.0
.LBB3_43:
	s_or_b32 exec_lo, exec_lo, s2
	v_dual_mov_b32 v40, 0 :: v_dual_mov_b32 v47, 0
	s_mov_b32 s2, exec_lo
	v_cmpx_o_f32_e32 v41, v41
	s_cbranch_execz .LBB3_45
; %bb.44:
	v_mul_f32_e32 v47, 0xbfb8aa3b, v41
	v_cmp_nlt_f32_e32 vcc_lo, 0x42ce8ed0, v41
	s_delay_alu instid0(VALU_DEP_2) | instskip(SKIP_1) | instid1(VALU_DEP_2)
	v_rndne_f32_e32 v70, v47
	v_fma_f32 v71, 0xbfb8aa3b, v41, -v47
	v_sub_f32_e32 v47, v47, v70
	s_delay_alu instid0(VALU_DEP_2) | instskip(SKIP_1) | instid1(VALU_DEP_2)
	v_fmamk_f32 v71, v41, 0xb2a5705f, v71
	v_cvt_i32_f32_e32 v70, v70
	v_add_f32_e32 v47, v47, v71
	s_delay_alu instid0(VALU_DEP_1) | instskip(SKIP_2) | instid1(VALU_DEP_1)
	v_exp_f32_e32 v47, v47
	s_waitcnt_depctr 0xfff
	v_ldexp_f32 v47, v47, v70
	v_cndmask_b32_e32 v47, 0, v47, vcc_lo
	v_cmp_ngt_f32_e32 vcc_lo, 0xc2b17218, v41
	s_delay_alu instid0(VALU_DEP_2) | instskip(NEXT) | instid1(VALU_DEP_1)
	v_cndmask_b32_e32 v41, 0x7f800000, v47, vcc_lo
	v_add_f32_e32 v41, 1.0, v41
	s_delay_alu instid0(VALU_DEP_1) | instskip(NEXT) | instid1(VALU_DEP_1)
	v_div_scale_f32 v47, null, v41, v41, 1.0
	v_rcp_f32_e32 v70, v47
	s_waitcnt_depctr 0xfff
	v_fma_f32 v71, -v47, v70, 1.0
	s_delay_alu instid0(VALU_DEP_1) | instskip(SKIP_1) | instid1(VALU_DEP_1)
	v_fmac_f32_e32 v70, v71, v70
	v_div_scale_f32 v71, vcc_lo, 1.0, v41, 1.0
	v_mul_f32_e32 v72, v71, v70
	s_delay_alu instid0(VALU_DEP_1) | instskip(NEXT) | instid1(VALU_DEP_1)
	v_fma_f32 v73, -v47, v72, v71
	v_fmac_f32_e32 v72, v73, v70
	s_delay_alu instid0(VALU_DEP_1) | instskip(NEXT) | instid1(VALU_DEP_1)
	v_fma_f32 v47, -v47, v72, v71
	v_div_fmas_f32 v47, v47, v70, v72
	s_delay_alu instid0(VALU_DEP_1)
	v_div_fixup_f32 v47, v47, v41, 1.0
.LBB3_45:
	s_or_b32 exec_lo, exec_lo, s2
	s_delay_alu instid0(SALU_CYCLE_1)
	s_mov_b32 s2, exec_lo
	v_cmpx_o_f32_e32 v42, v42
	s_cbranch_execz .LBB3_47
; %bb.46:
	v_mul_f32_e32 v40, 0xbfb8aa3b, v42
	v_cmp_nlt_f32_e32 vcc_lo, 0x42ce8ed0, v42
	s_delay_alu instid0(VALU_DEP_2) | instskip(SKIP_1) | instid1(VALU_DEP_2)
	v_rndne_f32_e32 v41, v40
	v_fma_f32 v70, 0xbfb8aa3b, v42, -v40
	v_sub_f32_e32 v40, v40, v41
	s_delay_alu instid0(VALU_DEP_2) | instskip(SKIP_1) | instid1(VALU_DEP_2)
	v_fmamk_f32 v70, v42, 0xb2a5705f, v70
	v_cvt_i32_f32_e32 v41, v41
	v_add_f32_e32 v40, v40, v70
	s_delay_alu instid0(VALU_DEP_1) | instskip(SKIP_2) | instid1(VALU_DEP_1)
	v_exp_f32_e32 v40, v40
	s_waitcnt_depctr 0xfff
	v_ldexp_f32 v40, v40, v41
	v_cndmask_b32_e32 v40, 0, v40, vcc_lo
	v_cmp_ngt_f32_e32 vcc_lo, 0xc2b17218, v42
	s_delay_alu instid0(VALU_DEP_2) | instskip(NEXT) | instid1(VALU_DEP_1)
	v_cndmask_b32_e32 v40, 0x7f800000, v40, vcc_lo
	v_add_f32_e32 v40, 1.0, v40
	s_delay_alu instid0(VALU_DEP_1) | instskip(NEXT) | instid1(VALU_DEP_1)
	v_div_scale_f32 v41, null, v40, v40, 1.0
	v_rcp_f32_e32 v42, v41
	s_waitcnt_depctr 0xfff
	v_fma_f32 v70, -v41, v42, 1.0
	s_delay_alu instid0(VALU_DEP_1) | instskip(SKIP_1) | instid1(VALU_DEP_1)
	v_fmac_f32_e32 v42, v70, v42
	v_div_scale_f32 v70, vcc_lo, 1.0, v40, 1.0
	v_mul_f32_e32 v71, v70, v42
	s_delay_alu instid0(VALU_DEP_1) | instskip(NEXT) | instid1(VALU_DEP_1)
	v_fma_f32 v72, -v41, v71, v70
	v_fmac_f32_e32 v71, v72, v42
	s_delay_alu instid0(VALU_DEP_1) | instskip(NEXT) | instid1(VALU_DEP_1)
	v_fma_f32 v41, -v41, v71, v70
	v_div_fmas_f32 v41, v41, v42, v71
	s_delay_alu instid0(VALU_DEP_1)
	v_div_fixup_f32 v40, v41, v40, 1.0
.LBB3_47:
	s_or_b32 exec_lo, exec_lo, s2
	v_dual_mov_b32 v41, 0 :: v_dual_mov_b32 v42, 0
	s_mov_b32 s2, exec_lo
	v_cmpx_o_f32_e32 v43, v43
	s_cbranch_execz .LBB3_49
; %bb.48:
	v_mul_f32_e32 v42, 0xbfb8aa3b, v43
	v_cmp_nlt_f32_e32 vcc_lo, 0x42ce8ed0, v43
	s_delay_alu instid0(VALU_DEP_2) | instskip(SKIP_1) | instid1(VALU_DEP_1)
	v_rndne_f32_e32 v70, v42
	v_fma_f32 v71, 0xbfb8aa3b, v43, -v42
	v_dual_sub_f32 v42, v42, v70 :: v_dual_fmamk_f32 v71, v43, 0xb2a5705f, v71
	v_cvt_i32_f32_e32 v70, v70
	s_delay_alu instid0(VALU_DEP_2) | instskip(NEXT) | instid1(VALU_DEP_1)
	v_add_f32_e32 v42, v42, v71
	v_exp_f32_e32 v42, v42
	s_waitcnt_depctr 0xfff
	v_ldexp_f32 v42, v42, v70
	s_delay_alu instid0(VALU_DEP_1) | instskip(SKIP_1) | instid1(VALU_DEP_2)
	v_cndmask_b32_e32 v42, 0, v42, vcc_lo
	v_cmp_ngt_f32_e32 vcc_lo, 0xc2b17218, v43
	v_cndmask_b32_e32 v42, 0x7f800000, v42, vcc_lo
	s_delay_alu instid0(VALU_DEP_1) | instskip(NEXT) | instid1(VALU_DEP_1)
	v_add_f32_e32 v42, 1.0, v42
	v_div_scale_f32 v43, null, v42, v42, 1.0
	s_delay_alu instid0(VALU_DEP_1) | instskip(SKIP_2) | instid1(VALU_DEP_1)
	v_rcp_f32_e32 v70, v43
	s_waitcnt_depctr 0xfff
	v_fma_f32 v71, -v43, v70, 1.0
	v_fmac_f32_e32 v70, v71, v70
	v_div_scale_f32 v71, vcc_lo, 1.0, v42, 1.0
	s_delay_alu instid0(VALU_DEP_1) | instskip(NEXT) | instid1(VALU_DEP_1)
	v_mul_f32_e32 v72, v71, v70
	v_fma_f32 v73, -v43, v72, v71
	s_delay_alu instid0(VALU_DEP_1) | instskip(NEXT) | instid1(VALU_DEP_1)
	v_fmac_f32_e32 v72, v73, v70
	v_fma_f32 v43, -v43, v72, v71
	s_delay_alu instid0(VALU_DEP_1) | instskip(NEXT) | instid1(VALU_DEP_1)
	v_div_fmas_f32 v43, v43, v70, v72
	v_div_fixup_f32 v42, v43, v42, 1.0
.LBB3_49:
	s_or_b32 exec_lo, exec_lo, s2
	s_delay_alu instid0(SALU_CYCLE_1)
	s_mov_b32 s2, exec_lo
	v_cmpx_o_f32_e32 v36, v36
	s_cbranch_execz .LBB3_51
; %bb.50:
	v_mul_f32_e32 v41, 0xbfb8aa3b, v36
	v_cmp_nlt_f32_e32 vcc_lo, 0x42ce8ed0, v36
	s_delay_alu instid0(VALU_DEP_2) | instskip(SKIP_1) | instid1(VALU_DEP_1)
	v_rndne_f32_e32 v43, v41
	v_fma_f32 v70, 0xbfb8aa3b, v36, -v41
	v_dual_sub_f32 v41, v41, v43 :: v_dual_fmamk_f32 v70, v36, 0xb2a5705f, v70
	v_cvt_i32_f32_e32 v43, v43
	s_delay_alu instid0(VALU_DEP_2) | instskip(NEXT) | instid1(VALU_DEP_1)
	v_add_f32_e32 v41, v41, v70
	v_exp_f32_e32 v41, v41
	s_waitcnt_depctr 0xfff
	v_ldexp_f32 v41, v41, v43
	s_delay_alu instid0(VALU_DEP_1) | instskip(SKIP_1) | instid1(VALU_DEP_2)
	v_cndmask_b32_e32 v41, 0, v41, vcc_lo
	v_cmp_ngt_f32_e32 vcc_lo, 0xc2b17218, v36
	v_cndmask_b32_e32 v36, 0x7f800000, v41, vcc_lo
	s_delay_alu instid0(VALU_DEP_1) | instskip(NEXT) | instid1(VALU_DEP_1)
	v_add_f32_e32 v36, 1.0, v36
	v_div_scale_f32 v41, null, v36, v36, 1.0
	s_delay_alu instid0(VALU_DEP_1) | instskip(SKIP_2) | instid1(VALU_DEP_1)
	v_rcp_f32_e32 v43, v41
	s_waitcnt_depctr 0xfff
	v_fma_f32 v70, -v41, v43, 1.0
	v_fmac_f32_e32 v43, v70, v43
	v_div_scale_f32 v70, vcc_lo, 1.0, v36, 1.0
	s_delay_alu instid0(VALU_DEP_1) | instskip(NEXT) | instid1(VALU_DEP_1)
	v_mul_f32_e32 v71, v70, v43
	v_fma_f32 v72, -v41, v71, v70
	s_delay_alu instid0(VALU_DEP_1) | instskip(NEXT) | instid1(VALU_DEP_1)
	v_fmac_f32_e32 v71, v72, v43
	v_fma_f32 v41, -v41, v71, v70
	s_delay_alu instid0(VALU_DEP_1) | instskip(NEXT) | instid1(VALU_DEP_1)
	v_div_fmas_f32 v41, v41, v43, v71
	v_div_fixup_f32 v41, v41, v36, 1.0
.LBB3_51:
	s_or_b32 exec_lo, exec_lo, s2
	v_dual_mov_b32 v36, 0 :: v_dual_mov_b32 v43, 0
	s_mov_b32 s2, exec_lo
	v_cmpx_o_f32_e32 v37, v37
	s_cbranch_execz .LBB3_53
; %bb.52:
	v_mul_f32_e32 v43, 0xbfb8aa3b, v37
	v_cmp_nlt_f32_e32 vcc_lo, 0x42ce8ed0, v37
	s_delay_alu instid0(VALU_DEP_2) | instskip(SKIP_1) | instid1(VALU_DEP_2)
	v_rndne_f32_e32 v70, v43
	v_fma_f32 v71, 0xbfb8aa3b, v37, -v43
	v_sub_f32_e32 v43, v43, v70
	s_delay_alu instid0(VALU_DEP_2) | instskip(SKIP_1) | instid1(VALU_DEP_2)
	v_fmamk_f32 v71, v37, 0xb2a5705f, v71
	v_cvt_i32_f32_e32 v70, v70
	v_add_f32_e32 v43, v43, v71
	s_delay_alu instid0(VALU_DEP_1) | instskip(SKIP_2) | instid1(VALU_DEP_1)
	v_exp_f32_e32 v43, v43
	s_waitcnt_depctr 0xfff
	v_ldexp_f32 v43, v43, v70
	v_cndmask_b32_e32 v43, 0, v43, vcc_lo
	v_cmp_ngt_f32_e32 vcc_lo, 0xc2b17218, v37
	s_delay_alu instid0(VALU_DEP_2) | instskip(NEXT) | instid1(VALU_DEP_1)
	v_cndmask_b32_e32 v37, 0x7f800000, v43, vcc_lo
	v_add_f32_e32 v37, 1.0, v37
	s_delay_alu instid0(VALU_DEP_1) | instskip(NEXT) | instid1(VALU_DEP_1)
	v_div_scale_f32 v43, null, v37, v37, 1.0
	v_rcp_f32_e32 v70, v43
	s_waitcnt_depctr 0xfff
	v_fma_f32 v71, -v43, v70, 1.0
	s_delay_alu instid0(VALU_DEP_1) | instskip(SKIP_1) | instid1(VALU_DEP_1)
	v_fmac_f32_e32 v70, v71, v70
	v_div_scale_f32 v71, vcc_lo, 1.0, v37, 1.0
	v_mul_f32_e32 v72, v71, v70
	s_delay_alu instid0(VALU_DEP_1) | instskip(NEXT) | instid1(VALU_DEP_1)
	v_fma_f32 v73, -v43, v72, v71
	v_fmac_f32_e32 v72, v73, v70
	s_delay_alu instid0(VALU_DEP_1) | instskip(NEXT) | instid1(VALU_DEP_1)
	v_fma_f32 v43, -v43, v72, v71
	v_div_fmas_f32 v43, v43, v70, v72
	s_delay_alu instid0(VALU_DEP_1)
	v_div_fixup_f32 v43, v43, v37, 1.0
.LBB3_53:
	s_or_b32 exec_lo, exec_lo, s2
	s_delay_alu instid0(SALU_CYCLE_1)
	s_mov_b32 s2, exec_lo
	v_cmpx_o_f32_e32 v38, v38
	s_cbranch_execz .LBB3_55
; %bb.54:
	v_mul_f32_e32 v36, 0xbfb8aa3b, v38
	v_cmp_nlt_f32_e32 vcc_lo, 0x42ce8ed0, v38
	s_delay_alu instid0(VALU_DEP_2) | instskip(SKIP_1) | instid1(VALU_DEP_2)
	v_rndne_f32_e32 v37, v36
	v_fma_f32 v70, 0xbfb8aa3b, v38, -v36
	v_sub_f32_e32 v36, v36, v37
	s_delay_alu instid0(VALU_DEP_2) | instskip(SKIP_1) | instid1(VALU_DEP_2)
	v_fmamk_f32 v70, v38, 0xb2a5705f, v70
	v_cvt_i32_f32_e32 v37, v37
	v_add_f32_e32 v36, v36, v70
	s_delay_alu instid0(VALU_DEP_1) | instskip(SKIP_2) | instid1(VALU_DEP_1)
	v_exp_f32_e32 v36, v36
	s_waitcnt_depctr 0xfff
	v_ldexp_f32 v36, v36, v37
	v_cndmask_b32_e32 v36, 0, v36, vcc_lo
	v_cmp_ngt_f32_e32 vcc_lo, 0xc2b17218, v38
	s_delay_alu instid0(VALU_DEP_2) | instskip(NEXT) | instid1(VALU_DEP_1)
	v_cndmask_b32_e32 v36, 0x7f800000, v36, vcc_lo
	v_add_f32_e32 v36, 1.0, v36
	s_delay_alu instid0(VALU_DEP_1) | instskip(NEXT) | instid1(VALU_DEP_1)
	v_div_scale_f32 v37, null, v36, v36, 1.0
	v_rcp_f32_e32 v38, v37
	s_waitcnt_depctr 0xfff
	v_fma_f32 v70, -v37, v38, 1.0
	s_delay_alu instid0(VALU_DEP_1) | instskip(SKIP_1) | instid1(VALU_DEP_1)
	v_fmac_f32_e32 v38, v70, v38
	v_div_scale_f32 v70, vcc_lo, 1.0, v36, 1.0
	v_mul_f32_e32 v71, v70, v38
	s_delay_alu instid0(VALU_DEP_1) | instskip(NEXT) | instid1(VALU_DEP_1)
	v_fma_f32 v72, -v37, v71, v70
	v_fmac_f32_e32 v71, v72, v38
	s_delay_alu instid0(VALU_DEP_1) | instskip(NEXT) | instid1(VALU_DEP_1)
	v_fma_f32 v37, -v37, v71, v70
	v_div_fmas_f32 v37, v37, v38, v71
	s_delay_alu instid0(VALU_DEP_1)
	v_div_fixup_f32 v36, v37, v36, 1.0
.LBB3_55:
	s_or_b32 exec_lo, exec_lo, s2
	v_dual_mov_b32 v37, 0 :: v_dual_mov_b32 v38, 0
	s_mov_b32 s2, exec_lo
	v_cmpx_o_f32_e32 v39, v39
	s_cbranch_execz .LBB3_57
; %bb.56:
	v_mul_f32_e32 v38, 0xbfb8aa3b, v39
	v_cmp_nlt_f32_e32 vcc_lo, 0x42ce8ed0, v39
	s_delay_alu instid0(VALU_DEP_2) | instskip(SKIP_1) | instid1(VALU_DEP_1)
	v_rndne_f32_e32 v70, v38
	v_fma_f32 v71, 0xbfb8aa3b, v39, -v38
	v_dual_sub_f32 v38, v38, v70 :: v_dual_fmamk_f32 v71, v39, 0xb2a5705f, v71
	v_cvt_i32_f32_e32 v70, v70
	s_delay_alu instid0(VALU_DEP_2) | instskip(NEXT) | instid1(VALU_DEP_1)
	v_add_f32_e32 v38, v38, v71
	v_exp_f32_e32 v38, v38
	s_waitcnt_depctr 0xfff
	v_ldexp_f32 v38, v38, v70
	s_delay_alu instid0(VALU_DEP_1) | instskip(SKIP_1) | instid1(VALU_DEP_2)
	v_cndmask_b32_e32 v38, 0, v38, vcc_lo
	v_cmp_ngt_f32_e32 vcc_lo, 0xc2b17218, v39
	v_cndmask_b32_e32 v38, 0x7f800000, v38, vcc_lo
	s_delay_alu instid0(VALU_DEP_1) | instskip(NEXT) | instid1(VALU_DEP_1)
	v_add_f32_e32 v38, 1.0, v38
	v_div_scale_f32 v39, null, v38, v38, 1.0
	s_delay_alu instid0(VALU_DEP_1) | instskip(SKIP_2) | instid1(VALU_DEP_1)
	v_rcp_f32_e32 v70, v39
	s_waitcnt_depctr 0xfff
	v_fma_f32 v71, -v39, v70, 1.0
	v_fmac_f32_e32 v70, v71, v70
	v_div_scale_f32 v71, vcc_lo, 1.0, v38, 1.0
	s_delay_alu instid0(VALU_DEP_1) | instskip(NEXT) | instid1(VALU_DEP_1)
	v_mul_f32_e32 v72, v71, v70
	v_fma_f32 v73, -v39, v72, v71
	s_delay_alu instid0(VALU_DEP_1) | instskip(NEXT) | instid1(VALU_DEP_1)
	v_fmac_f32_e32 v72, v73, v70
	v_fma_f32 v39, -v39, v72, v71
	s_delay_alu instid0(VALU_DEP_1) | instskip(NEXT) | instid1(VALU_DEP_1)
	v_div_fmas_f32 v39, v39, v70, v72
	v_div_fixup_f32 v38, v39, v38, 1.0
.LBB3_57:
	s_or_b32 exec_lo, exec_lo, s2
	s_delay_alu instid0(SALU_CYCLE_1)
	s_mov_b32 s2, exec_lo
	v_cmpx_o_f32_e32 v32, v32
	s_cbranch_execz .LBB3_59
; %bb.58:
	v_mul_f32_e32 v37, 0xbfb8aa3b, v32
	v_cmp_nlt_f32_e32 vcc_lo, 0x42ce8ed0, v32
	s_delay_alu instid0(VALU_DEP_2) | instskip(SKIP_1) | instid1(VALU_DEP_1)
	v_rndne_f32_e32 v39, v37
	v_fma_f32 v70, 0xbfb8aa3b, v32, -v37
	v_dual_sub_f32 v37, v37, v39 :: v_dual_fmamk_f32 v70, v32, 0xb2a5705f, v70
	v_cvt_i32_f32_e32 v39, v39
	s_delay_alu instid0(VALU_DEP_2) | instskip(NEXT) | instid1(VALU_DEP_1)
	v_add_f32_e32 v37, v37, v70
	v_exp_f32_e32 v37, v37
	s_waitcnt_depctr 0xfff
	v_ldexp_f32 v37, v37, v39
	s_delay_alu instid0(VALU_DEP_1) | instskip(SKIP_1) | instid1(VALU_DEP_2)
	v_cndmask_b32_e32 v37, 0, v37, vcc_lo
	v_cmp_ngt_f32_e32 vcc_lo, 0xc2b17218, v32
	v_cndmask_b32_e32 v32, 0x7f800000, v37, vcc_lo
	s_delay_alu instid0(VALU_DEP_1) | instskip(NEXT) | instid1(VALU_DEP_1)
	v_add_f32_e32 v32, 1.0, v32
	v_div_scale_f32 v37, null, v32, v32, 1.0
	s_delay_alu instid0(VALU_DEP_1) | instskip(SKIP_2) | instid1(VALU_DEP_1)
	v_rcp_f32_e32 v39, v37
	s_waitcnt_depctr 0xfff
	v_fma_f32 v70, -v37, v39, 1.0
	v_fmac_f32_e32 v39, v70, v39
	v_div_scale_f32 v70, vcc_lo, 1.0, v32, 1.0
	s_delay_alu instid0(VALU_DEP_1) | instskip(NEXT) | instid1(VALU_DEP_1)
	v_mul_f32_e32 v71, v70, v39
	v_fma_f32 v72, -v37, v71, v70
	s_delay_alu instid0(VALU_DEP_1) | instskip(NEXT) | instid1(VALU_DEP_1)
	v_fmac_f32_e32 v71, v72, v39
	v_fma_f32 v37, -v37, v71, v70
	s_delay_alu instid0(VALU_DEP_1) | instskip(NEXT) | instid1(VALU_DEP_1)
	v_div_fmas_f32 v37, v37, v39, v71
	v_div_fixup_f32 v37, v37, v32, 1.0
.LBB3_59:
	s_or_b32 exec_lo, exec_lo, s2
	v_dual_mov_b32 v32, 0 :: v_dual_mov_b32 v39, 0
	s_mov_b32 s2, exec_lo
	v_cmpx_o_f32_e32 v33, v33
	s_cbranch_execz .LBB3_61
; %bb.60:
	v_mul_f32_e32 v39, 0xbfb8aa3b, v33
	v_cmp_nlt_f32_e32 vcc_lo, 0x42ce8ed0, v33
	s_delay_alu instid0(VALU_DEP_2) | instskip(SKIP_1) | instid1(VALU_DEP_2)
	v_rndne_f32_e32 v70, v39
	v_fma_f32 v71, 0xbfb8aa3b, v33, -v39
	v_sub_f32_e32 v39, v39, v70
	s_delay_alu instid0(VALU_DEP_2) | instskip(SKIP_1) | instid1(VALU_DEP_2)
	v_fmamk_f32 v71, v33, 0xb2a5705f, v71
	v_cvt_i32_f32_e32 v70, v70
	v_add_f32_e32 v39, v39, v71
	s_delay_alu instid0(VALU_DEP_1) | instskip(SKIP_2) | instid1(VALU_DEP_1)
	v_exp_f32_e32 v39, v39
	s_waitcnt_depctr 0xfff
	v_ldexp_f32 v39, v39, v70
	v_cndmask_b32_e32 v39, 0, v39, vcc_lo
	v_cmp_ngt_f32_e32 vcc_lo, 0xc2b17218, v33
	s_delay_alu instid0(VALU_DEP_2) | instskip(NEXT) | instid1(VALU_DEP_1)
	v_cndmask_b32_e32 v33, 0x7f800000, v39, vcc_lo
	v_add_f32_e32 v33, 1.0, v33
	s_delay_alu instid0(VALU_DEP_1) | instskip(NEXT) | instid1(VALU_DEP_1)
	v_div_scale_f32 v39, null, v33, v33, 1.0
	v_rcp_f32_e32 v70, v39
	s_waitcnt_depctr 0xfff
	v_fma_f32 v71, -v39, v70, 1.0
	s_delay_alu instid0(VALU_DEP_1) | instskip(SKIP_1) | instid1(VALU_DEP_1)
	v_fmac_f32_e32 v70, v71, v70
	v_div_scale_f32 v71, vcc_lo, 1.0, v33, 1.0
	v_mul_f32_e32 v72, v71, v70
	s_delay_alu instid0(VALU_DEP_1) | instskip(NEXT) | instid1(VALU_DEP_1)
	v_fma_f32 v73, -v39, v72, v71
	v_fmac_f32_e32 v72, v73, v70
	s_delay_alu instid0(VALU_DEP_1) | instskip(NEXT) | instid1(VALU_DEP_1)
	v_fma_f32 v39, -v39, v72, v71
	v_div_fmas_f32 v39, v39, v70, v72
	s_delay_alu instid0(VALU_DEP_1)
	v_div_fixup_f32 v39, v39, v33, 1.0
.LBB3_61:
	s_or_b32 exec_lo, exec_lo, s2
	s_delay_alu instid0(SALU_CYCLE_1)
	s_mov_b32 s2, exec_lo
	v_cmpx_o_f32_e32 v34, v34
	s_cbranch_execz .LBB3_63
; %bb.62:
	v_mul_f32_e32 v32, 0xbfb8aa3b, v34
	v_cmp_nlt_f32_e32 vcc_lo, 0x42ce8ed0, v34
	s_delay_alu instid0(VALU_DEP_2) | instskip(SKIP_1) | instid1(VALU_DEP_2)
	v_rndne_f32_e32 v33, v32
	v_fma_f32 v70, 0xbfb8aa3b, v34, -v32
	v_sub_f32_e32 v32, v32, v33
	s_delay_alu instid0(VALU_DEP_2) | instskip(SKIP_1) | instid1(VALU_DEP_2)
	v_fmamk_f32 v70, v34, 0xb2a5705f, v70
	v_cvt_i32_f32_e32 v33, v33
	v_add_f32_e32 v32, v32, v70
	s_delay_alu instid0(VALU_DEP_1) | instskip(SKIP_2) | instid1(VALU_DEP_1)
	v_exp_f32_e32 v32, v32
	s_waitcnt_depctr 0xfff
	v_ldexp_f32 v32, v32, v33
	v_cndmask_b32_e32 v32, 0, v32, vcc_lo
	v_cmp_ngt_f32_e32 vcc_lo, 0xc2b17218, v34
	s_delay_alu instid0(VALU_DEP_2) | instskip(NEXT) | instid1(VALU_DEP_1)
	v_cndmask_b32_e32 v32, 0x7f800000, v32, vcc_lo
	v_add_f32_e32 v32, 1.0, v32
	s_delay_alu instid0(VALU_DEP_1) | instskip(NEXT) | instid1(VALU_DEP_1)
	v_div_scale_f32 v33, null, v32, v32, 1.0
	v_rcp_f32_e32 v34, v33
	s_waitcnt_depctr 0xfff
	v_fma_f32 v70, -v33, v34, 1.0
	s_delay_alu instid0(VALU_DEP_1) | instskip(SKIP_1) | instid1(VALU_DEP_1)
	v_fmac_f32_e32 v34, v70, v34
	v_div_scale_f32 v70, vcc_lo, 1.0, v32, 1.0
	v_mul_f32_e32 v71, v70, v34
	s_delay_alu instid0(VALU_DEP_1) | instskip(NEXT) | instid1(VALU_DEP_1)
	v_fma_f32 v72, -v33, v71, v70
	v_fmac_f32_e32 v71, v72, v34
	s_delay_alu instid0(VALU_DEP_1) | instskip(NEXT) | instid1(VALU_DEP_1)
	v_fma_f32 v33, -v33, v71, v70
	v_div_fmas_f32 v33, v33, v34, v71
	s_delay_alu instid0(VALU_DEP_1)
	v_div_fixup_f32 v32, v33, v32, 1.0
.LBB3_63:
	s_or_b32 exec_lo, exec_lo, s2
	v_mov_b32_e32 v33, 0
	s_mov_b32 s2, exec_lo
	v_cmpx_o_f32_e32 v35, v35
	s_cbranch_execz .LBB3_65
; %bb.64:
	v_mul_f32_e32 v33, 0xbfb8aa3b, v35
	v_cmp_nlt_f32_e32 vcc_lo, 0x42ce8ed0, v35
	s_delay_alu instid0(VALU_DEP_2) | instskip(SKIP_1) | instid1(VALU_DEP_1)
	v_rndne_f32_e32 v34, v33
	v_fma_f32 v70, 0xbfb8aa3b, v35, -v33
	v_dual_sub_f32 v33, v33, v34 :: v_dual_fmamk_f32 v70, v35, 0xb2a5705f, v70
	v_cvt_i32_f32_e32 v34, v34
	s_delay_alu instid0(VALU_DEP_2) | instskip(NEXT) | instid1(VALU_DEP_1)
	v_add_f32_e32 v33, v33, v70
	v_exp_f32_e32 v33, v33
	s_waitcnt_depctr 0xfff
	v_ldexp_f32 v33, v33, v34
	s_delay_alu instid0(VALU_DEP_1) | instskip(SKIP_1) | instid1(VALU_DEP_2)
	v_cndmask_b32_e32 v33, 0, v33, vcc_lo
	v_cmp_ngt_f32_e32 vcc_lo, 0xc2b17218, v35
	v_cndmask_b32_e32 v33, 0x7f800000, v33, vcc_lo
	s_delay_alu instid0(VALU_DEP_1) | instskip(NEXT) | instid1(VALU_DEP_1)
	v_add_f32_e32 v33, 1.0, v33
	v_div_scale_f32 v34, null, v33, v33, 1.0
	s_delay_alu instid0(VALU_DEP_1) | instskip(SKIP_2) | instid1(VALU_DEP_1)
	v_rcp_f32_e32 v35, v34
	s_waitcnt_depctr 0xfff
	v_fma_f32 v70, -v34, v35, 1.0
	v_fmac_f32_e32 v35, v70, v35
	v_div_scale_f32 v70, vcc_lo, 1.0, v33, 1.0
	s_delay_alu instid0(VALU_DEP_1) | instskip(NEXT) | instid1(VALU_DEP_1)
	v_mul_f32_e32 v71, v70, v35
	v_fma_f32 v72, -v34, v71, v70
	s_delay_alu instid0(VALU_DEP_1) | instskip(NEXT) | instid1(VALU_DEP_1)
	v_fmac_f32_e32 v71, v72, v35
	v_fma_f32 v34, -v34, v71, v70
	s_delay_alu instid0(VALU_DEP_1) | instskip(NEXT) | instid1(VALU_DEP_1)
	v_div_fmas_f32 v34, v34, v35, v71
	v_div_fixup_f32 v33, v34, v33, 1.0
.LBB3_65:
	s_or_b32 exec_lo, exec_lo, s2
	s_waitcnt vmcnt(0)
	v_dual_add_f32 v28, v28, v67 :: v_dual_add_f32 v29, v29, v68
	s_mov_b32 s2, exec_lo
	s_delay_alu instid0(VALU_DEP_1) | instskip(NEXT) | instid1(VALU_DEP_1)
	v_dual_max_f32 v35, 0xff7fffff, v28 :: v_dual_mov_b32 v70, v29
	v_mov_b32_e32 v34, v35
	v_cmpx_ngt_f32_e32 v29, v35
	s_cbranch_execz .LBB3_69
; %bb.66:
	v_mov_b32_e32 v34, 0xff7fffff
	s_mov_b32 s3, exec_lo
	v_cmpx_lt_f32_e32 0xff7fffff, v29
; %bb.67:
	v_mov_b32_e32 v34, v29
; %bb.68:
	s_or_b32 exec_lo, exec_lo, s3
	v_mov_b32_e32 v70, v35
.LBB3_69:
	s_or_b32 exec_lo, exec_lo, s2
	v_add_f32_e32 v30, v30, v60
	s_delay_alu instid0(VALU_DEP_2) | instskip(SKIP_1) | instid1(VALU_DEP_2)
	v_mov_b32_e32 v35, v70
	s_mov_b32 s2, exec_lo
	v_mov_b32_e32 v71, v30
	v_cmpx_ngt_f32_e32 v30, v70
	s_cbranch_execz .LBB3_73
; %bb.70:
	s_mov_b32 s3, exec_lo
	v_cmpx_gt_f32_e32 v30, v34
; %bb.71:
	v_mov_b32_e32 v34, v30
; %bb.72:
	s_or_b32 exec_lo, exec_lo, s3
	s_delay_alu instid0(VALU_DEP_1)
	v_mov_b32_e32 v35, v34
	v_mov_b32_e32 v71, v70
.LBB3_73:
	s_or_b32 exec_lo, exec_lo, s2
	v_add_f32_e32 v31, v31, v62
	s_delay_alu instid0(VALU_DEP_2) | instskip(SKIP_1) | instid1(VALU_DEP_2)
	v_mov_b32_e32 v34, v71
	s_mov_b32 s2, exec_lo
	v_mov_b32_e32 v70, v31
	v_cmpx_ngt_f32_e32 v31, v71
	s_cbranch_execz .LBB3_77
; %bb.74:
	s_mov_b32 s3, exec_lo
	v_cmpx_gt_f32_e32 v31, v35
; %bb.75:
	v_mov_b32_e32 v35, v31
; %bb.76:
	s_or_b32 exec_lo, exec_lo, s3
	s_delay_alu instid0(VALU_DEP_1)
	v_mov_b32_e32 v34, v35
	v_mov_b32_e32 v70, v71
.LBB3_77:
	s_or_b32 exec_lo, exec_lo, s2
	s_delay_alu instid0(VALU_DEP_1) | instskip(SKIP_1) | instid1(VALU_DEP_1)
	v_dual_add_f32 v24, v24, v61 :: v_dual_mov_b32 v35, v70
	s_mov_b32 s2, exec_lo
	v_mov_b32_e32 v71, v24
	v_cmpx_ngt_f32_e32 v24, v70
	s_cbranch_execz .LBB3_81
; %bb.78:
	s_mov_b32 s3, exec_lo
	v_cmpx_gt_f32_e32 v24, v34
; %bb.79:
	v_mov_b32_e32 v34, v24
; %bb.80:
	s_or_b32 exec_lo, exec_lo, s3
	s_delay_alu instid0(VALU_DEP_1)
	v_mov_b32_e32 v35, v34
	v_mov_b32_e32 v71, v70
.LBB3_81:
	s_or_b32 exec_lo, exec_lo, s2
	s_delay_alu instid0(VALU_DEP_1) | instskip(SKIP_1) | instid1(VALU_DEP_1)
	v_dual_add_f32 v25, v25, v63 :: v_dual_mov_b32 v34, v71
	s_mov_b32 s2, exec_lo
	v_mov_b32_e32 v70, v25
	v_cmpx_ngt_f32_e32 v25, v71
	s_cbranch_execz .LBB3_85
; %bb.82:
	s_mov_b32 s3, exec_lo
	v_cmpx_gt_f32_e32 v25, v35
; %bb.83:
	v_mov_b32_e32 v35, v25
; %bb.84:
	s_or_b32 exec_lo, exec_lo, s3
	s_delay_alu instid0(VALU_DEP_1)
	v_mov_b32_e32 v34, v35
	v_mov_b32_e32 v70, v71
.LBB3_85:
	s_or_b32 exec_lo, exec_lo, s2
	v_add_f32_e32 v26, v26, v56
	s_delay_alu instid0(VALU_DEP_2) | instskip(SKIP_1) | instid1(VALU_DEP_2)
	v_mov_b32_e32 v35, v70
	s_mov_b32 s2, exec_lo
	v_mov_b32_e32 v71, v26
	v_cmpx_ngt_f32_e32 v26, v70
	s_cbranch_execz .LBB3_89
; %bb.86:
	s_mov_b32 s3, exec_lo
	v_cmpx_gt_f32_e32 v26, v34
; %bb.87:
	v_mov_b32_e32 v34, v26
; %bb.88:
	s_or_b32 exec_lo, exec_lo, s3
	s_delay_alu instid0(VALU_DEP_1)
	v_mov_b32_e32 v35, v34
	v_mov_b32_e32 v71, v70
.LBB3_89:
	s_or_b32 exec_lo, exec_lo, s2
	v_add_f32_e32 v27, v27, v58
	s_delay_alu instid0(VALU_DEP_2) | instskip(SKIP_1) | instid1(VALU_DEP_2)
	v_mov_b32_e32 v34, v71
	s_mov_b32 s2, exec_lo
	v_mov_b32_e32 v70, v27
	v_cmpx_ngt_f32_e32 v27, v71
	s_cbranch_execz .LBB3_93
; %bb.90:
	s_mov_b32 s3, exec_lo
	v_cmpx_gt_f32_e32 v27, v35
; %bb.91:
	v_mov_b32_e32 v35, v27
; %bb.92:
	s_or_b32 exec_lo, exec_lo, s3
	s_delay_alu instid0(VALU_DEP_1)
	v_mov_b32_e32 v34, v35
	v_mov_b32_e32 v70, v71
.LBB3_93:
	s_or_b32 exec_lo, exec_lo, s2
	s_delay_alu instid0(VALU_DEP_1) | instskip(SKIP_1) | instid1(VALU_DEP_1)
	v_dual_add_f32 v20, v20, v57 :: v_dual_mov_b32 v35, v70
	s_mov_b32 s2, exec_lo
	v_mov_b32_e32 v71, v20
	v_cmpx_ngt_f32_e32 v20, v70
	s_cbranch_execz .LBB3_97
; %bb.94:
	s_mov_b32 s3, exec_lo
	v_cmpx_gt_f32_e32 v20, v34
; %bb.95:
	v_mov_b32_e32 v34, v20
; %bb.96:
	s_or_b32 exec_lo, exec_lo, s3
	s_delay_alu instid0(VALU_DEP_1)
	v_mov_b32_e32 v35, v34
	v_mov_b32_e32 v71, v70
.LBB3_97:
	s_or_b32 exec_lo, exec_lo, s2
	s_delay_alu instid0(VALU_DEP_1) | instskip(SKIP_1) | instid1(VALU_DEP_1)
	v_dual_add_f32 v21, v21, v59 :: v_dual_mov_b32 v34, v71
	s_mov_b32 s2, exec_lo
	v_mov_b32_e32 v70, v21
	v_cmpx_ngt_f32_e32 v21, v71
	s_cbranch_execz .LBB3_101
; %bb.98:
	s_mov_b32 s3, exec_lo
	v_cmpx_gt_f32_e32 v21, v35
; %bb.99:
	v_mov_b32_e32 v35, v21
; %bb.100:
	s_or_b32 exec_lo, exec_lo, s3
	s_delay_alu instid0(VALU_DEP_1)
	v_mov_b32_e32 v34, v35
	v_mov_b32_e32 v70, v71
.LBB3_101:
	s_or_b32 exec_lo, exec_lo, s2
	v_add_f32_e32 v22, v22, v52
	s_delay_alu instid0(VALU_DEP_2) | instskip(SKIP_1) | instid1(VALU_DEP_2)
	v_mov_b32_e32 v35, v70
	s_mov_b32 s2, exec_lo
	v_mov_b32_e32 v71, v22
	v_cmpx_ngt_f32_e32 v22, v70
	s_cbranch_execz .LBB3_105
; %bb.102:
	s_mov_b32 s3, exec_lo
	v_cmpx_gt_f32_e32 v22, v34
; %bb.103:
	v_mov_b32_e32 v34, v22
; %bb.104:
	s_or_b32 exec_lo, exec_lo, s3
	s_delay_alu instid0(VALU_DEP_1)
	v_mov_b32_e32 v35, v34
	v_mov_b32_e32 v71, v70
.LBB3_105:
	s_or_b32 exec_lo, exec_lo, s2
	v_add_f32_e32 v23, v23, v54
	s_delay_alu instid0(VALU_DEP_2) | instskip(SKIP_1) | instid1(VALU_DEP_2)
	v_mov_b32_e32 v34, v71
	s_mov_b32 s2, exec_lo
	v_mov_b32_e32 v70, v23
	v_cmpx_ngt_f32_e32 v23, v71
	s_cbranch_execz .LBB3_109
; %bb.106:
	s_mov_b32 s3, exec_lo
	v_cmpx_gt_f32_e32 v23, v35
; %bb.107:
	v_mov_b32_e32 v35, v23
; %bb.108:
	s_or_b32 exec_lo, exec_lo, s3
	s_delay_alu instid0(VALU_DEP_1)
	v_mov_b32_e32 v34, v35
	v_mov_b32_e32 v70, v71
.LBB3_109:
	s_or_b32 exec_lo, exec_lo, s2
	s_delay_alu instid0(VALU_DEP_1) | instskip(SKIP_1) | instid1(VALU_DEP_1)
	v_dual_add_f32 v16, v16, v53 :: v_dual_mov_b32 v35, v70
	s_mov_b32 s2, exec_lo
	v_mov_b32_e32 v71, v16
	v_cmpx_ngt_f32_e32 v16, v70
	s_cbranch_execz .LBB3_113
; %bb.110:
	s_mov_b32 s3, exec_lo
	v_cmpx_gt_f32_e32 v16, v34
; %bb.111:
	v_mov_b32_e32 v34, v16
; %bb.112:
	s_or_b32 exec_lo, exec_lo, s3
	s_delay_alu instid0(VALU_DEP_1)
	v_mov_b32_e32 v35, v34
	v_mov_b32_e32 v71, v70
.LBB3_113:
	s_or_b32 exec_lo, exec_lo, s2
	s_delay_alu instid0(VALU_DEP_1) | instskip(SKIP_1) | instid1(VALU_DEP_1)
	v_dual_add_f32 v17, v17, v55 :: v_dual_mov_b32 v34, v71
	s_mov_b32 s2, exec_lo
	v_mov_b32_e32 v70, v17
	v_cmpx_ngt_f32_e32 v17, v71
	s_cbranch_execz .LBB3_117
; %bb.114:
	s_mov_b32 s3, exec_lo
	v_cmpx_gt_f32_e32 v17, v35
; %bb.115:
	v_mov_b32_e32 v35, v17
; %bb.116:
	s_or_b32 exec_lo, exec_lo, s3
	s_delay_alu instid0(VALU_DEP_1)
	v_mov_b32_e32 v34, v35
	v_mov_b32_e32 v70, v71
.LBB3_117:
	s_or_b32 exec_lo, exec_lo, s2
	v_add_f32_e32 v18, v18, v48
	s_delay_alu instid0(VALU_DEP_2) | instskip(SKIP_1) | instid1(VALU_DEP_2)
	v_mov_b32_e32 v35, v70
	s_mov_b32 s2, exec_lo
	v_mov_b32_e32 v71, v18
	v_cmpx_ngt_f32_e32 v18, v70
	s_cbranch_execz .LBB3_121
; %bb.118:
	s_mov_b32 s3, exec_lo
	v_cmpx_gt_f32_e32 v18, v34
; %bb.119:
	v_mov_b32_e32 v34, v18
; %bb.120:
	s_or_b32 exec_lo, exec_lo, s3
	s_delay_alu instid0(VALU_DEP_1)
	v_mov_b32_e32 v35, v34
	v_mov_b32_e32 v71, v70
.LBB3_121:
	s_or_b32 exec_lo, exec_lo, s2
	v_add_f32_e32 v19, v19, v50
	s_delay_alu instid0(VALU_DEP_2) | instskip(SKIP_1) | instid1(VALU_DEP_2)
	v_mov_b32_e32 v34, v71
	s_mov_b32 s2, exec_lo
	v_mov_b32_e32 v70, v19
	v_cmpx_ngt_f32_e32 v19, v71
	s_cbranch_execz .LBB3_125
; %bb.122:
	s_mov_b32 s3, exec_lo
	v_cmpx_gt_f32_e32 v19, v35
; %bb.123:
	v_mov_b32_e32 v35, v19
; %bb.124:
	s_or_b32 exec_lo, exec_lo, s3
	s_delay_alu instid0(VALU_DEP_1)
	v_mov_b32_e32 v34, v35
	v_mov_b32_e32 v70, v71
.LBB3_125:
	s_or_b32 exec_lo, exec_lo, s2
	s_delay_alu instid0(VALU_DEP_1) | instskip(SKIP_1) | instid1(VALU_DEP_1)
	v_dual_add_f32 v12, v12, v49 :: v_dual_mov_b32 v35, v70
	s_mov_b32 s2, exec_lo
	v_mov_b32_e32 v71, v12
	v_cmpx_ngt_f32_e32 v12, v70
	s_cbranch_execz .LBB3_129
; %bb.126:
	s_mov_b32 s3, exec_lo
	v_cmpx_gt_f32_e32 v12, v34
; %bb.127:
	v_mov_b32_e32 v34, v12
; %bb.128:
	s_or_b32 exec_lo, exec_lo, s3
	s_delay_alu instid0(VALU_DEP_1)
	v_mov_b32_e32 v35, v34
	v_mov_b32_e32 v71, v70
.LBB3_129:
	s_or_b32 exec_lo, exec_lo, s2
	s_delay_alu instid0(VALU_DEP_1) | instskip(SKIP_1) | instid1(VALU_DEP_1)
	v_dual_add_f32 v13, v13, v51 :: v_dual_mov_b32 v34, v71
	s_mov_b32 s2, exec_lo
	v_mov_b32_e32 v70, v13
	v_cmpx_ngt_f32_e32 v13, v71
	s_cbranch_execz .LBB3_133
; %bb.130:
	s_mov_b32 s3, exec_lo
	v_cmpx_gt_f32_e32 v13, v35
; %bb.131:
	v_mov_b32_e32 v35, v13
; %bb.132:
	s_or_b32 exec_lo, exec_lo, s3
	s_delay_alu instid0(VALU_DEP_1)
	v_mov_b32_e32 v34, v35
	v_mov_b32_e32 v70, v71
.LBB3_133:
	s_or_b32 exec_lo, exec_lo, s2
	v_add_f32_e32 v14, v14, v44
	s_delay_alu instid0(VALU_DEP_2) | instskip(SKIP_1) | instid1(VALU_DEP_2)
	v_mov_b32_e32 v35, v70
	s_mov_b32 s2, exec_lo
	v_mov_b32_e32 v71, v14
	v_cmpx_ngt_f32_e32 v14, v70
	s_cbranch_execz .LBB3_137
; %bb.134:
	s_mov_b32 s3, exec_lo
	v_cmpx_gt_f32_e32 v14, v34
; %bb.135:
	v_mov_b32_e32 v34, v14
; %bb.136:
	s_or_b32 exec_lo, exec_lo, s3
	s_delay_alu instid0(VALU_DEP_1)
	v_mov_b32_e32 v35, v34
	v_mov_b32_e32 v71, v70
.LBB3_137:
	s_or_b32 exec_lo, exec_lo, s2
	v_add_f32_e32 v15, v15, v46
	s_delay_alu instid0(VALU_DEP_2) | instskip(SKIP_1) | instid1(VALU_DEP_2)
	v_mov_b32_e32 v34, v71
	s_mov_b32 s2, exec_lo
	v_mov_b32_e32 v70, v15
	v_cmpx_ngt_f32_e32 v15, v71
	s_cbranch_execz .LBB3_141
; %bb.138:
	s_mov_b32 s3, exec_lo
	v_cmpx_gt_f32_e32 v15, v35
; %bb.139:
	v_mov_b32_e32 v35, v15
; %bb.140:
	s_or_b32 exec_lo, exec_lo, s3
	s_delay_alu instid0(VALU_DEP_1)
	v_mov_b32_e32 v34, v35
	v_mov_b32_e32 v70, v71
.LBB3_141:
	s_or_b32 exec_lo, exec_lo, s2
	s_delay_alu instid0(VALU_DEP_1) | instskip(SKIP_1) | instid1(VALU_DEP_1)
	v_dual_add_f32 v8, v8, v45 :: v_dual_mov_b32 v35, v70
	s_mov_b32 s2, exec_lo
	v_mov_b32_e32 v71, v8
	v_cmpx_ngt_f32_e32 v8, v70
	s_cbranch_execz .LBB3_145
; %bb.142:
	s_mov_b32 s3, exec_lo
	v_cmpx_gt_f32_e32 v8, v34
; %bb.143:
	v_mov_b32_e32 v34, v8
; %bb.144:
	s_or_b32 exec_lo, exec_lo, s3
	s_delay_alu instid0(VALU_DEP_1)
	v_mov_b32_e32 v35, v34
	v_mov_b32_e32 v71, v70
.LBB3_145:
	s_or_b32 exec_lo, exec_lo, s2
	s_delay_alu instid0(VALU_DEP_1) | instskip(SKIP_1) | instid1(VALU_DEP_1)
	v_dual_add_f32 v9, v9, v47 :: v_dual_mov_b32 v70, v71
	s_mov_b32 s2, exec_lo
	v_mov_b32_e32 v72, v9
	v_cmpx_ngt_f32_e32 v9, v71
	s_cbranch_execz .LBB3_149
; %bb.146:
	s_mov_b32 s3, exec_lo
	v_cmpx_gt_f32_e32 v9, v35
; %bb.147:
	v_mov_b32_e32 v35, v9
; %bb.148:
	s_or_b32 exec_lo, exec_lo, s3
	s_delay_alu instid0(VALU_DEP_1)
	v_mov_b32_e32 v70, v35
	v_mov_b32_e32 v72, v71
.LBB3_149:
	s_or_b32 exec_lo, exec_lo, s2
	v_add_f32_e32 v34, v10, v40
	s_delay_alu instid0(VALU_DEP_2) | instskip(SKIP_1) | instid1(VALU_DEP_2)
	v_mov_b32_e32 v10, v72
	s_mov_b32 s2, exec_lo
	v_mov_b32_e32 v35, v34
	v_cmpx_ngt_f32_e32 v34, v72
	s_cbranch_execz .LBB3_153
; %bb.150:
	s_mov_b32 s3, exec_lo
	v_cmpx_gt_f32_e32 v34, v70
; %bb.151:
	v_mov_b32_e32 v70, v34
; %bb.152:
	s_or_b32 exec_lo, exec_lo, s3
	s_delay_alu instid0(VALU_DEP_1)
	v_dual_mov_b32 v10, v70 :: v_dual_mov_b32 v35, v72
.LBB3_153:
	s_or_b32 exec_lo, exec_lo, s2
	v_add_f32_e32 v11, v11, v42
	s_delay_alu instid0(VALU_DEP_2) | instskip(SKIP_1) | instid1(VALU_DEP_2)
	v_mov_b32_e32 v70, v35
	s_mov_b32 s2, exec_lo
	v_mov_b32_e32 v71, v11
	v_cmpx_ngt_f32_e32 v11, v35
	s_cbranch_execz .LBB3_157
; %bb.154:
	s_mov_b32 s3, exec_lo
	v_cmpx_gt_f32_e32 v11, v10
; %bb.155:
	v_mov_b32_e32 v10, v11
; %bb.156:
	s_or_b32 exec_lo, exec_lo, s3
	s_delay_alu instid0(VALU_DEP_1)
	v_dual_mov_b32 v70, v10 :: v_dual_mov_b32 v71, v35
.LBB3_157:
	s_or_b32 exec_lo, exec_lo, s2
	s_delay_alu instid0(VALU_DEP_1) | instskip(SKIP_1) | instid1(VALU_DEP_1)
	v_dual_add_f32 v35, v4, v41 :: v_dual_mov_b32 v4, v71
	s_mov_b32 s2, exec_lo
	v_mov_b32_e32 v10, v35
	v_cmpx_ngt_f32_e32 v35, v71
	s_cbranch_execz .LBB3_161
; %bb.158:
	s_mov_b32 s3, exec_lo
	v_cmpx_gt_f32_e32 v35, v70
; %bb.159:
	v_mov_b32_e32 v70, v35
; %bb.160:
	s_or_b32 exec_lo, exec_lo, s3
	s_delay_alu instid0(VALU_DEP_1)
	v_mov_b32_e32 v4, v70
	v_mov_b32_e32 v10, v71
.LBB3_161:
	s_or_b32 exec_lo, exec_lo, s2
	s_delay_alu instid0(VALU_DEP_1) | instskip(SKIP_1) | instid1(VALU_DEP_1)
	v_dual_add_f32 v70, v5, v43 :: v_dual_mov_b32 v5, v10
	s_mov_b32 s2, exec_lo
	v_mov_b32_e32 v71, v70
	v_cmpx_ngt_f32_e32 v70, v10
	s_cbranch_execz .LBB3_165
; %bb.162:
	s_mov_b32 s3, exec_lo
	v_cmpx_gt_f32_e32 v70, v4
; %bb.163:
	v_mov_b32_e32 v4, v70
; %bb.164:
	s_or_b32 exec_lo, exec_lo, s3
	s_delay_alu instid0(VALU_DEP_1)
	v_mov_b32_e32 v5, v4
	v_mov_b32_e32 v71, v10
.LBB3_165:
	s_or_b32 exec_lo, exec_lo, s2
	v_add_f32_e32 v6, v6, v36
	s_delay_alu instid0(VALU_DEP_2) | instskip(SKIP_1) | instid1(VALU_DEP_2)
	v_mov_b32_e32 v4, v71
	s_mov_b32 s2, exec_lo
	v_mov_b32_e32 v10, v6
	v_cmpx_ngt_f32_e32 v6, v71
	s_cbranch_execz .LBB3_169
; %bb.166:
	s_mov_b32 s3, exec_lo
	v_cmpx_gt_f32_e32 v6, v5
; %bb.167:
	v_mov_b32_e32 v5, v6
; %bb.168:
	s_or_b32 exec_lo, exec_lo, s3
	s_delay_alu instid0(VALU_DEP_1)
	v_mov_b32_e32 v4, v5
	v_mov_b32_e32 v10, v71
.LBB3_169:
	s_or_b32 exec_lo, exec_lo, s2
	v_add_f32_e32 v7, v7, v38
	s_delay_alu instid0(VALU_DEP_2) | instskip(SKIP_1) | instid1(VALU_DEP_2)
	v_mov_b32_e32 v5, v10
	s_mov_b32 s2, exec_lo
	v_mov_b32_e32 v72, v7
	v_cmpx_ngt_f32_e32 v7, v10
	s_cbranch_execz .LBB3_173
; %bb.170:
	s_mov_b32 s3, exec_lo
	v_cmpx_gt_f32_e32 v7, v4
; %bb.171:
	v_mov_b32_e32 v4, v7
; %bb.172:
	s_or_b32 exec_lo, exec_lo, s3
	s_delay_alu instid0(VALU_DEP_1)
	v_dual_mov_b32 v5, v4 :: v_dual_mov_b32 v72, v10
.LBB3_173:
	s_or_b32 exec_lo, exec_lo, s2
	v_add_f32_e32 v71, v0, v37
	s_delay_alu instid0(VALU_DEP_2) | instskip(SKIP_1) | instid1(VALU_DEP_2)
	v_mov_b32_e32 v0, v72
	s_mov_b32 s2, exec_lo
	v_mov_b32_e32 v4, v71
	v_cmpx_ngt_f32_e32 v71, v72
	s_cbranch_execz .LBB3_177
; %bb.174:
	s_mov_b32 s3, exec_lo
	v_cmpx_gt_f32_e32 v71, v5
; %bb.175:
	v_mov_b32_e32 v5, v71
; %bb.176:
	s_or_b32 exec_lo, exec_lo, s3
	s_delay_alu instid0(VALU_DEP_1)
	v_mov_b32_e32 v0, v5
	v_mov_b32_e32 v4, v72
.LBB3_177:
	s_or_b32 exec_lo, exec_lo, s2
	s_delay_alu instid0(VALU_DEP_1) | instskip(SKIP_1) | instid1(VALU_DEP_1)
	v_dual_add_f32 v72, v1, v39 :: v_dual_mov_b32 v1, v4
	s_mov_b32 s2, exec_lo
	v_mov_b32_e32 v5, v72
	v_cmpx_ngt_f32_e32 v72, v4
	s_cbranch_execz .LBB3_181
; %bb.178:
	s_mov_b32 s3, exec_lo
	v_cmpx_gt_f32_e32 v72, v0
; %bb.179:
	v_mov_b32_e32 v0, v72
; %bb.180:
	s_or_b32 exec_lo, exec_lo, s3
	s_delay_alu instid0(VALU_DEP_1)
	v_mov_b32_e32 v1, v0
	v_mov_b32_e32 v5, v4
.LBB3_181:
	s_or_b32 exec_lo, exec_lo, s2
	s_delay_alu instid0(VALU_DEP_1) | instskip(SKIP_1) | instid1(VALU_DEP_1)
	v_dual_add_f32 v73, v2, v32 :: v_dual_mov_b32 v0, v5
	s_mov_b32 s2, exec_lo
	v_mov_b32_e32 v2, v73
	v_cmpx_ngt_f32_e32 v73, v5
	s_cbranch_execz .LBB3_185
; %bb.182:
	s_mov_b32 s3, exec_lo
	v_cmpx_gt_f32_e32 v73, v1
; %bb.183:
	v_mov_b32_e32 v1, v73
; %bb.184:
	s_or_b32 exec_lo, exec_lo, s3
	s_delay_alu instid0(VALU_DEP_1)
	v_mov_b32_e32 v0, v1
	v_mov_b32_e32 v2, v5
.LBB3_185:
	s_or_b32 exec_lo, exec_lo, s2
	s_delay_alu instid0(VALU_DEP_1) | instskip(SKIP_1) | instid1(VALU_DEP_1)
	v_dual_add_f32 v74, v3, v33 :: v_dual_mov_b32 v1, v2
	s_mov_b32 s2, exec_lo
	v_mov_b32_e32 v3, v74
	v_cmpx_ngt_f32_e32 v74, v2
	s_cbranch_execz .LBB3_189
; %bb.186:
	s_mov_b32 s3, exec_lo
	v_cmpx_gt_f32_e32 v74, v0
; %bb.187:
	v_mov_b32_e32 v0, v74
; %bb.188:
	s_or_b32 exec_lo, exec_lo, s3
	s_delay_alu instid0(VALU_DEP_1)
	v_mov_b32_e32 v1, v0
	v_mov_b32_e32 v3, v2
.LBB3_189:
	s_or_b32 exec_lo, exec_lo, s2
	v_cmp_lt_i64_e64 s2, s[46:47], 8
	v_lshlrev_b32_e32 v75, 5, v66
	s_delay_alu instid0(VALU_DEP_2)
	s_and_b32 vcc_lo, exec_lo, s2
	s_cbranch_vccz .LBB3_192
; %bb.190:
	v_add_f32_e32 v0, v1, v3
	s_sub_u32 s4, 8, s46
	s_subb_u32 s5, 0, s47
	s_mov_b64 s[6:7], 0
.LBB3_191:                              ; =>This Inner Loop Header: Depth=1
	s_delay_alu instid0(VALU_DEP_1) | instskip(SKIP_1) | instid1(VALU_DEP_2)
	v_mov_b32_dpp v1, v0 quad_perm:[1,0,3,2] row_mask:0xf bank_mask:0xf
	v_mov_b32_dpp v2, v75 quad_perm:[1,0,3,2] row_mask:0xf bank_mask:0xf
	v_cmp_eq_f32_e32 vcc_lo, v0, v1
	s_delay_alu instid0(VALU_DEP_2) | instskip(SKIP_1) | instid1(VALU_DEP_2)
	v_cmp_lt_i32_e64 s2, v75, v2
	v_cmp_lt_f32_e64 s3, v0, v1
	s_and_b32 s2, s2, vcc_lo
	s_delay_alu instid0(VALU_DEP_1) | instid1(SALU_CYCLE_1)
	s_or_b32 vcc_lo, s3, s2
	v_dual_cndmask_b32 v1, v1, v0 :: v_dual_cndmask_b32 v2, v2, v75
	s_delay_alu instid0(VALU_DEP_1) | instskip(NEXT) | instid1(VALU_DEP_2)
	v_mov_b32_dpp v3, v1 quad_perm:[2,3,0,1] row_mask:0xf bank_mask:0xf
	v_mov_b32_dpp v4, v2 quad_perm:[2,3,0,1] row_mask:0xf bank_mask:0xf
	s_delay_alu instid0(VALU_DEP_2) | instskip(NEXT) | instid1(VALU_DEP_2)
	v_cmp_eq_f32_e32 vcc_lo, v1, v3
	v_cmp_lt_i32_e64 s2, v2, v4
	s_delay_alu instid0(VALU_DEP_1) | instskip(SKIP_2) | instid1(VALU_DEP_2)
	s_and_b32 vcc_lo, vcc_lo, s2
	v_cmp_lt_f32_e64 s2, v1, v3
	v_cndmask_b32_e32 v5, v3, v1, vcc_lo
	s_or_b32 vcc_lo, s2, vcc_lo
	s_add_u32 s6, s6, 1
	v_cndmask_b32_e32 v2, v4, v2, vcc_lo
	s_delay_alu instid0(VALU_DEP_2) | instskip(SKIP_1) | instid1(SALU_CYCLE_1)
	v_cndmask_b32_e64 v1, v5, v1, s2
	s_addc_u32 s7, s7, 0
	v_cmp_le_i64_e64 s2, s[4:5], s[6:7]
	s_delay_alu instid0(VALU_DEP_3) | instskip(NEXT) | instid1(VALU_DEP_3)
	v_mov_b32_dpp v3, v2 row_half_mirror row_mask:0xf bank_mask:0xf
	v_mov_b32_dpp v4, v1 row_half_mirror row_mask:0xf bank_mask:0xf
	s_delay_alu instid0(VALU_DEP_2) | instskip(NEXT) | instid1(VALU_DEP_2)
	v_min_i32_e32 v5, v2, v3
	v_cmp_eq_f32_e32 vcc_lo, v1, v4
	s_delay_alu instid0(VALU_DEP_2) | instskip(SKIP_1) | instid1(VALU_DEP_2)
	v_cndmask_b32_e32 v3, v3, v5, vcc_lo
	v_cmp_lt_f32_e32 vcc_lo, v1, v4
	v_cndmask_b32_e32 v1, v3, v2, vcc_lo
	s_delay_alu instid0(VALU_DEP_1) | instskip(NEXT) | instid1(VALU_DEP_1)
	v_ashrrev_i32_e32 v2, 31, v1
	v_lshrrev_b32_e32 v2, 27, v2
	s_delay_alu instid0(VALU_DEP_1) | instskip(NEXT) | instid1(VALU_DEP_1)
	v_add_nc_u32_e32 v1, v1, v2
	v_ashrrev_i32_e32 v1, 5, v1
	s_delay_alu instid0(VALU_DEP_1)
	v_cmp_eq_u32_e32 vcc_lo, v66, v1
	v_cndmask_b32_e64 v28, v28, 0x7f7fffff, vcc_lo
	v_cndmask_b32_e64 v0, v0, 0x7f7fffff, vcc_lo
	s_and_b32 vcc_lo, exec_lo, s2
	s_cbranch_vccz .LBB3_191
.LBB3_192:
	s_sub_u32 s36, s48, s50
	s_subb_u32 s37, s49, s51
	s_mov_b64 s[2:3], src_shared_base
	s_cmp_lg_u32 0, -1
	v_lshlrev_b32_e32 v4, 2, v69
	s_cselect_b32 s2, s3, 0
	s_cselect_b32 s3, 0, 0
	s_load_b32 s35, s[0:1], 0x48
	s_add_u32 s4, s3, 0xff
	s_addc_u32 s3, s2, 0
	s_and_b32 s2, s4, 0xffffff00
	s_delay_alu instid0(SALU_CYCLE_1) | instskip(SKIP_1) | instid1(VALU_DEP_1)
	v_mad_u64_u32 v[0:1], null, v4, s48, s[2:3]
	v_cmp_lt_i64_e64 s2, s[36:37], 1
	s_and_b32 vcc_lo, exec_lo, s2
	s_delay_alu instid0(VALU_DEP_2) | instskip(SKIP_1) | instid1(VALU_DEP_2)
	v_mad_u64_u32 v[2:3], null, v4, s49, v[1:2]
	v_cmp_eq_u32_e64 s2, 0, v66
	v_mov_b32_e32 v1, v2
	s_cbranch_vccnz .LBB3_203
; %bb.193:
	s_waitcnt lgkmcnt(0)
	v_mad_u64_u32 v[2:3], null, s35, v64, 0
	s_ashr_i32 s3, s35, 31
	v_mul_u32_u24_e32 v69, 32, v66
	s_mov_b64 s[38:39], 0
	v_mov_b32_e32 v10, 0
	s_delay_alu instid0(VALU_DEP_3) | instskip(NEXT) | instid1(VALU_DEP_1)
	v_mad_u64_u32 v[4:5], null, s3, v64, v[3:4]
	v_mov_b32_e32 v3, v4
	v_dual_mov_b32 v5, v1 :: v_dual_mov_b32 v4, v0
	s_delay_alu instid0(VALU_DEP_2) | instskip(NEXT) | instid1(VALU_DEP_1)
	v_lshlrev_b64 v[2:3], 2, v[2:3]
	v_add_co_u32 v2, vcc_lo, s42, v2
	s_delay_alu instid0(VALU_DEP_2)
	v_add_co_ci_u32_e32 v3, vcc_lo, s43, v3, vcc_lo
	s_branch .LBB3_195
.LBB3_194:                              ;   in Loop: Header=BB3_195 Depth=1
	s_or_b32 exec_lo, exec_lo, s3
	s_add_u32 s38, s38, 1
	s_addc_u32 s39, s39, 0
	v_add_co_u32 v2, vcc_lo, v2, 4
	v_cmp_le_i64_e64 s3, s[36:37], s[38:39]
	v_add_co_ci_u32_e32 v3, vcc_lo, 0, v3, vcc_lo
	v_add_co_u32 v4, vcc_lo, v4, 4
	v_add_co_ci_u32_e32 v5, vcc_lo, 0, v5, vcc_lo
	s_delay_alu instid0(VALU_DEP_4)
	s_and_b32 vcc_lo, exec_lo, s3
	s_cbranch_vccnz .LBB3_204
.LBB3_195:                              ; =>This Inner Loop Header: Depth=1
	v_dual_mov_b32 v76, 0xff7fffff :: v_dual_mov_b32 v77, v75
	s_mov_b32 s3, exec_lo
	v_cmpx_neq_f32_e32 0x7f7fffff, v28
	s_cbranch_execz .LBB3_197
; %bb.196:                              ;   in Loop: Header=BB3_195 Depth=1
	v_cmp_gt_f32_e32 vcc_lo, v29, v28
	v_cndmask_b32_e32 v76, v28, v29, vcc_lo
	v_cndmask_b32_e64 v77, 0, 1, vcc_lo
	s_delay_alu instid0(VALU_DEP_2) | instskip(SKIP_1) | instid1(VALU_DEP_3)
	v_cmp_gt_f32_e32 vcc_lo, v30, v76
	v_cndmask_b32_e32 v76, v76, v30, vcc_lo
	v_cndmask_b32_e64 v77, v77, 2, vcc_lo
	s_delay_alu instid0(VALU_DEP_2) | instskip(SKIP_1) | instid1(VALU_DEP_3)
	;; [unrolled: 4-line block ×29, first 2 shown]
	v_cmp_gt_f32_e32 vcc_lo, v73, v76
	v_cndmask_b32_e32 v76, v76, v73, vcc_lo
	v_cndmask_b32_e64 v77, v77, 30, vcc_lo
	s_delay_alu instid0(VALU_DEP_2) | instskip(NEXT) | instid1(VALU_DEP_2)
	v_cmp_gt_f32_e32 vcc_lo, v74, v76
	v_cndmask_b32_e64 v77, v77, 31, vcc_lo
	v_cndmask_b32_e32 v76, v76, v74, vcc_lo
	s_delay_alu instid0(VALU_DEP_2)
	v_or_b32_e32 v77, v77, v75
.LBB3_197:                              ;   in Loop: Header=BB3_195 Depth=1
	s_or_b32 exec_lo, exec_lo, s3
	s_delay_alu instid0(VALU_DEP_2) | instskip(NEXT) | instid1(VALU_DEP_2)
	v_mov_b32_dpp v78, v76 quad_perm:[1,0,3,2] row_mask:0xf bank_mask:0xf
	v_mov_b32_dpp v79, v77 quad_perm:[1,0,3,2] row_mask:0xf bank_mask:0xf
	s_mov_b32 s44, exec_lo
	s_delay_alu instid0(VALU_DEP_2) | instskip(NEXT) | instid1(VALU_DEP_2)
	v_cmp_eq_f32_e32 vcc_lo, v76, v78
	v_cmp_lt_i32_e64 s3, v77, v79
	v_cmp_gt_f32_e64 s4, v76, v78
	s_delay_alu instid0(VALU_DEP_2)
	s_and_b32 s3, vcc_lo, s3
	s_delay_alu instid0(VALU_DEP_1) | instid1(SALU_CYCLE_1)
	s_or_b32 vcc_lo, s4, s3
	v_dual_cndmask_b32 v76, v78, v76 :: v_dual_cndmask_b32 v77, v79, v77
	s_delay_alu instid0(VALU_DEP_1) | instskip(NEXT) | instid1(VALU_DEP_2)
	v_mov_b32_dpp v78, v76 quad_perm:[2,3,0,1] row_mask:0xf bank_mask:0xf
	v_mov_b32_dpp v79, v77 quad_perm:[2,3,0,1] row_mask:0xf bank_mask:0xf
	s_delay_alu instid0(VALU_DEP_2) | instskip(NEXT) | instid1(VALU_DEP_2)
	v_cmp_eq_f32_e32 vcc_lo, v76, v78
	v_cmp_lt_i32_e64 s3, v77, v79
	s_delay_alu instid0(VALU_DEP_1) | instskip(SKIP_2) | instid1(VALU_DEP_2)
	s_and_b32 vcc_lo, vcc_lo, s3
	v_cmp_gt_f32_e64 s3, v76, v78
	v_cndmask_b32_e32 v80, v78, v76, vcc_lo
	s_or_b32 vcc_lo, s3, vcc_lo
	v_cndmask_b32_e32 v77, v79, v77, vcc_lo
	s_delay_alu instid0(VALU_DEP_2) | instskip(NEXT) | instid1(VALU_DEP_2)
	v_cndmask_b32_e64 v76, v80, v76, s3
	v_mov_b32_dpp v78, v77 row_half_mirror row_mask:0xf bank_mask:0xf
	s_delay_alu instid0(VALU_DEP_2) | instskip(NEXT) | instid1(VALU_DEP_2)
	v_mov_b32_dpp v79, v76 row_half_mirror row_mask:0xf bank_mask:0xf
	v_min_i32_e32 v80, v77, v78
	s_delay_alu instid0(VALU_DEP_2) | instskip(NEXT) | instid1(VALU_DEP_2)
	v_cmp_eq_f32_e32 vcc_lo, v76, v79
	v_cndmask_b32_e32 v78, v78, v80, vcc_lo
	v_cmp_gt_f32_e32 vcc_lo, v76, v79
	s_delay_alu instid0(VALU_DEP_2) | instskip(NEXT) | instid1(VALU_DEP_1)
	v_cndmask_b32_e32 v76, v78, v77, vcc_lo
	v_ashrrev_i32_e32 v77, 31, v76
	s_delay_alu instid0(VALU_DEP_1) | instskip(NEXT) | instid1(VALU_DEP_1)
	v_lshrrev_b32_e32 v77, 27, v77
	v_add_nc_u32_e32 v77, v76, v77
	s_delay_alu instid0(VALU_DEP_1) | instskip(NEXT) | instid1(VALU_DEP_1)
	v_ashrrev_i32_e32 v77, 5, v77
	v_cmpx_eq_u32_e64 v66, v77
	s_cbranch_execz .LBB3_201
; %bb.198:                              ;   in Loop: Header=BB3_195 Depth=1
	v_sub_nc_u32_e32 v77, v76, v69
	s_mov_b32 s45, exec_lo
	s_delay_alu instid0(VALU_DEP_1)
	v_cmp_eq_u32_e32 vcc_lo, 1, v77
	v_cmp_eq_u32_e64 s3, 2, v77
	v_cmp_eq_u32_e64 s4, 3, v77
	;; [unrolled: 1-line block ×30, first 2 shown]
	v_cmpx_gt_u32_e32 32, v77
	s_cbranch_execz .LBB3_200
; %bb.199:                              ;   in Loop: Header=BB3_195 Depth=1
	v_cndmask_b32_e32 v78, v67, v68, vcc_lo
	s_delay_alu instid0(VALU_DEP_1) | instskip(NEXT) | instid1(VALU_DEP_1)
	v_cndmask_b32_e64 v78, v78, v60, s3
	v_cndmask_b32_e64 v78, v78, v62, s4
	s_delay_alu instid0(VALU_DEP_1) | instskip(NEXT) | instid1(VALU_DEP_1)
	v_cndmask_b32_e64 v78, v78, v61, s5
	v_cndmask_b32_e64 v78, v78, v63, s6
	;; [unrolled: 3-line block ×15, first 2 shown]
	flat_store_b32 v[4:5], v78
.LBB3_200:                              ;   in Loop: Header=BB3_195 Depth=1
	s_or_b32 exec_lo, exec_lo, s45
	v_cmp_ne_u32_e64 s34, 0, v77
	v_cndmask_b32_e64 v29, v29, 0xff7fffff, vcc_lo
	v_cndmask_b32_e64 v30, v30, 0xff7fffff, s3
	v_cndmask_b32_e64 v31, v31, 0xff7fffff, s4
	v_cndmask_b32_e64 v24, v24, 0xff7fffff, s5
	v_cndmask_b32_e64 v28, 0xff7fffff, v28, s34
	v_cndmask_b32_e64 v25, v25, 0xff7fffff, s6
	v_cndmask_b32_e64 v26, v26, 0xff7fffff, s7
	v_cndmask_b32_e64 v27, v27, 0xff7fffff, s8
	v_cndmask_b32_e64 v20, v20, 0xff7fffff, s9
	v_cndmask_b32_e64 v21, v21, 0xff7fffff, s10
	v_cndmask_b32_e64 v22, v22, 0xff7fffff, s11
	v_cndmask_b32_e64 v23, v23, 0xff7fffff, s12
	v_cndmask_b32_e64 v16, v16, 0xff7fffff, s13
	v_cndmask_b32_e64 v17, v17, 0xff7fffff, s14
	v_cndmask_b32_e64 v18, v18, 0xff7fffff, s15
	v_cndmask_b32_e64 v19, v19, 0xff7fffff, s16
	v_cndmask_b32_e64 v12, v12, 0xff7fffff, s17
	v_cndmask_b32_e64 v13, v13, 0xff7fffff, s18
	v_cndmask_b32_e64 v14, v14, 0xff7fffff, s19
	v_cndmask_b32_e64 v15, v15, 0xff7fffff, s20
	v_cndmask_b32_e64 v8, v8, 0xff7fffff, s21
	v_cndmask_b32_e64 v9, v9, 0xff7fffff, s22
	v_cndmask_b32_e64 v34, v34, 0xff7fffff, s23
	v_cndmask_b32_e64 v11, v11, 0xff7fffff, s24
	v_cndmask_b32_e64 v35, v35, 0xff7fffff, s25
	v_cndmask_b32_e64 v70, v70, 0xff7fffff, s26
	v_cndmask_b32_e64 v6, v6, 0xff7fffff, s27
	v_cndmask_b32_e64 v7, v7, 0xff7fffff, s28
	v_cndmask_b32_e64 v71, v71, 0xff7fffff, s29
	v_cndmask_b32_e64 v72, v72, 0xff7fffff, s30
	v_cndmask_b32_e64 v73, v73, 0xff7fffff, s31
	v_cndmask_b32_e64 v74, v74, 0xff7fffff, s33
	global_store_b32 v[2:3], v76, off
.LBB3_201:                              ;   in Loop: Header=BB3_195 Depth=1
	s_or_b32 exec_lo, exec_lo, s44
	s_waitcnt lgkmcnt(0)
	s_waitcnt_vscnt null, 0x0
	s_barrier
	buffer_gl0_inv
	s_and_saveexec_b32 s3, s2
	s_cbranch_execz .LBB3_194
; %bb.202:                              ;   in Loop: Header=BB3_195 Depth=1
	flat_load_b32 v76, v[4:5]
	s_waitcnt vmcnt(0) lgkmcnt(0)
	v_add_f32_e32 v10, v10, v76
	s_branch .LBB3_194
.LBB3_203:
	v_mov_b32_e32 v10, 0
.LBB3_204:
	v_cmp_gt_i64_e64 s3, s[50:51], 0
	v_cmp_eq_u32_e64 s2, 0, v66
	s_delay_alu instid0(VALU_DEP_1) | instskip(NEXT) | instid1(SALU_CYCLE_1)
	s_and_b32 s4, s2, s3
	s_and_saveexec_b32 s3, s4
	s_cbranch_execz .LBB3_210
; %bb.205:
	v_dual_mov_b32 v2, v64 :: v_dual_mov_b32 v3, v65
	s_mov_b32 s4, exec_lo
	v_cmpx_le_u64_e64 s[50:51], v[64:65]
	s_cbranch_execz .LBB3_207
; %bb.206:
	v_cvt_f32_u32_e32 v2, s50
	s_sub_i32 s5, 0, s50
	s_delay_alu instid0(VALU_DEP_1) | instskip(SKIP_2) | instid1(VALU_DEP_1)
	v_rcp_iflag_f32_e32 v2, v2
	s_waitcnt_depctr 0xfff
	v_mul_f32_e32 v2, 0x4f7ffffe, v2
	v_cvt_u32_f32_e32 v2, v2
	s_delay_alu instid0(VALU_DEP_1) | instskip(NEXT) | instid1(VALU_DEP_1)
	v_mul_lo_u32 v3, s5, v2
	v_mul_hi_u32 v3, v2, v3
	s_delay_alu instid0(VALU_DEP_1) | instskip(NEXT) | instid1(VALU_DEP_1)
	v_add_nc_u32_e32 v2, v2, v3
	v_mul_hi_u32 v2, v64, v2
	s_delay_alu instid0(VALU_DEP_1) | instskip(NEXT) | instid1(VALU_DEP_1)
	v_mul_lo_u32 v2, v2, s50
	v_sub_nc_u32_e32 v2, v64, v2
	s_delay_alu instid0(VALU_DEP_1) | instskip(SKIP_1) | instid1(VALU_DEP_2)
	v_subrev_nc_u32_e32 v3, s50, v2
	v_cmp_le_u32_e32 vcc_lo, s50, v2
	v_cndmask_b32_e32 v2, v2, v3, vcc_lo
	s_delay_alu instid0(VALU_DEP_1) | instskip(SKIP_1) | instid1(VALU_DEP_2)
	v_subrev_nc_u32_e32 v3, s50, v2
	v_cmp_le_u32_e32 vcc_lo, s50, v2
	v_dual_cndmask_b32 v2, v2, v3 :: v_dual_mov_b32 v3, 0
.LBB3_207:
	s_or_b32 exec_lo, exec_lo, s4
	v_cvt_f64_f32_e32 v[4:5], v10
	s_load_b64 s[0:1], s[0:1], 0x40
	s_waitcnt lgkmcnt(0)
	s_delay_alu instid0(VALU_DEP_1) | instskip(SKIP_1) | instid1(VALU_DEP_2)
	v_div_scale_f64 v[6:7], null, s[0:1], s[0:1], v[4:5]
	v_div_scale_f64 v[13:14], vcc_lo, v[4:5], s[0:1], v[4:5]
	v_rcp_f64_e32 v[8:9], v[6:7]
	s_waitcnt_depctr 0xfff
	v_fma_f64 v[11:12], -v[6:7], v[8:9], 1.0
	s_delay_alu instid0(VALU_DEP_1) | instskip(NEXT) | instid1(VALU_DEP_1)
	v_fma_f64 v[8:9], v[8:9], v[11:12], v[8:9]
	v_fma_f64 v[11:12], -v[6:7], v[8:9], 1.0
	s_delay_alu instid0(VALU_DEP_1) | instskip(NEXT) | instid1(VALU_DEP_1)
	v_fma_f64 v[8:9], v[8:9], v[11:12], v[8:9]
	v_mul_f64 v[11:12], v[13:14], v[8:9]
	s_delay_alu instid0(VALU_DEP_1) | instskip(NEXT) | instid1(VALU_DEP_1)
	v_fma_f64 v[6:7], -v[6:7], v[11:12], v[13:14]
	v_div_fmas_f64 v[6:7], v[6:7], v[8:9], v[11:12]
	v_add_nc_u32_e32 v9, 0x100, v2
	s_delay_alu instid0(VALU_DEP_2) | instskip(SKIP_2) | instid1(VALU_DEP_2)
	v_div_fixup_f64 v[4:5], v[6:7], s[0:1], v[4:5]
	v_mad_u64_u32 v[6:7], null, s35, v64, s[36:37]
	s_ashr_i32 s0, s35, 31
	v_cvt_f32_f64_e32 v8, v[4:5]
	s_delay_alu instid0(VALU_DEP_2) | instskip(NEXT) | instid1(VALU_DEP_1)
	v_mov_b32_e32 v4, v7
	v_mad_u64_u32 v[11:12], null, s0, v64, v[4:5]
	v_cmp_lt_u64_e64 s0, s[50:51], 2
	s_delay_alu instid0(VALU_DEP_2) | instskip(NEXT) | instid1(VALU_DEP_1)
	v_mov_b32_e32 v7, v11
	v_lshlrev_b64 v[4:5], 2, v[6:7]
	s_delay_alu instid0(VALU_DEP_1) | instskip(NEXT) | instid1(VALU_DEP_2)
	v_add_co_u32 v6, vcc_lo, s42, v4
	v_add_co_ci_u32_e32 v7, vcc_lo, s43, v5, vcc_lo
	v_add_co_u32 v11, vcc_lo, s40, v4
	v_add_co_ci_u32_e32 v12, vcc_lo, s41, v5, vcc_lo
	s_and_b32 vcc_lo, exec_lo, s0
	global_store_b32 v[6:7], v9, off
	global_store_b32 v[11:12], v8, off
	s_cbranch_vccnz .LBB3_210
; %bb.208:
	v_add_co_u32 v6, vcc_lo, v4, 4
	v_add_co_ci_u32_e32 v7, vcc_lo, 0, v5, vcc_lo
	s_mov_b64 s[0:1], 1
	s_delay_alu instid0(VALU_DEP_2) | instskip(NEXT) | instid1(VALU_DEP_2)
	v_add_co_u32 v4, vcc_lo, s40, v6
	v_add_co_ci_u32_e32 v5, vcc_lo, s41, v7, vcc_lo
	v_add_co_u32 v6, vcc_lo, s42, v6
	v_add_co_ci_u32_e32 v7, vcc_lo, s43, v7, vcc_lo
	.p2align	6
.LBB3_209:                              ; =>This Inner Loop Header: Depth=1
	s_delay_alu instid0(VALU_DEP_2)
	v_add_co_u32 v11, vcc_lo, v2, 1
	v_add_co_ci_u32_e32 v12, vcc_lo, 0, v3, vcc_lo
	v_add_nc_u32_e32 v2, 0x101, v2
	s_add_u32 s0, s0, 1
	global_store_b32 v[4:5], v8, off
	v_add_co_u32 v4, vcc_lo, v4, 4
	s_addc_u32 s1, s1, 0
	v_add_co_ci_u32_e32 v5, vcc_lo, 0, v5, vcc_lo
	v_cmp_lt_u64_e64 s4, s[0:1], s[50:51]
	global_store_b32 v[6:7], v2, off
	v_add_co_u32 v6, vcc_lo, v6, 4
	v_dual_mov_b32 v2, v11 :: v_dual_mov_b32 v3, v12
	v_add_co_ci_u32_e32 v7, vcc_lo, 0, v7, vcc_lo
	s_and_b32 vcc_lo, exec_lo, s4
	s_cbranch_vccnz .LBB3_209
.LBB3_210:
	s_or_b32 exec_lo, exec_lo, s3
	v_cmp_gt_i64_e64 s3, s[48:49], 0
	s_mov_b64 s[0:1], 0
	s_waitcnt lgkmcnt(0)
	s_waitcnt_vscnt null, 0x0
	s_barrier
	buffer_gl0_inv
	s_and_b32 s2, s2, s3
	s_delay_alu instid0(SALU_CYCLE_1)
	s_and_b32 exec_lo, exec_lo, s2
	s_cbranch_execz .LBB3_217
; %bb.211:
	v_mad_u64_u32 v[2:3], null, s35, v64, 0
	s_ashr_i32 s2, s35, 31
	s_delay_alu instid0(VALU_DEP_1) | instid1(SALU_CYCLE_1)
	v_mad_u64_u32 v[4:5], null, s2, v64, v[3:4]
	v_cmp_lt_u64_e64 s2, s[48:49], 8
	s_delay_alu instid0(VALU_DEP_2) | instskip(NEXT) | instid1(VALU_DEP_1)
	v_mov_b32_e32 v3, v4
	v_lshlrev_b64 v[2:3], 2, v[2:3]
	s_delay_alu instid0(VALU_DEP_1) | instskip(NEXT) | instid1(VALU_DEP_2)
	v_add_co_u32 v2, vcc_lo, s40, v2
	v_add_co_ci_u32_e32 v3, vcc_lo, s41, v3, vcc_lo
	s_and_b32 vcc_lo, exec_lo, s2
	s_cbranch_vccnz .LBB3_214
; %bb.212:
	s_and_b32 s1, s49, 0x7fffffff
	s_and_b32 s0, s48, -8
	s_mov_b64 s[2:3], 0
	s_mov_b64 s[4:5], s[0:1]
.LBB3_213:                              ; =>This Inner Loop Header: Depth=1
	v_add_co_u32 v4, vcc_lo, v0, s2
	v_add_co_ci_u32_e32 v5, vcc_lo, s3, v1, vcc_lo
	flat_load_b32 v8, v[4:5]
	s_waitcnt vmcnt(0) lgkmcnt(0)
	v_div_scale_f32 v6, null, v10, v10, v8
	v_div_scale_f32 v11, vcc_lo, v8, v10, v8
	s_delay_alu instid0(VALU_DEP_2) | instskip(SKIP_2) | instid1(VALU_DEP_1)
	v_rcp_f32_e32 v7, v6
	s_waitcnt_depctr 0xfff
	v_fma_f32 v9, -v6, v7, 1.0
	v_fmac_f32_e32 v7, v9, v7
	s_delay_alu instid0(VALU_DEP_1) | instskip(NEXT) | instid1(VALU_DEP_1)
	v_mul_f32_e32 v9, v11, v7
	v_fma_f32 v12, -v6, v9, v11
	s_delay_alu instid0(VALU_DEP_1) | instskip(NEXT) | instid1(VALU_DEP_1)
	v_fmac_f32_e32 v9, v12, v7
	v_fma_f32 v6, -v6, v9, v11
	s_delay_alu instid0(VALU_DEP_1) | instskip(SKIP_2) | instid1(VALU_DEP_3)
	v_div_fmas_f32 v9, v6, v7, v9
	v_add_co_u32 v6, vcc_lo, v2, s2
	v_add_co_ci_u32_e32 v7, vcc_lo, s3, v3, vcc_lo
	v_div_fixup_f32 v8, v9, v10, v8
	s_add_u32 s2, s2, 32
	s_addc_u32 s3, s3, 0
	s_add_u32 s4, s4, -8
	s_addc_u32 s5, s5, -1
	global_store_b32 v[6:7], v8, off
	flat_load_b32 v8, v[4:5] offset:4
	s_cmp_lg_u64 s[4:5], 0
	s_waitcnt vmcnt(0) lgkmcnt(0)
	v_div_scale_f32 v9, null, v10, v10, v8
	v_div_scale_f32 v13, vcc_lo, v8, v10, v8
	s_delay_alu instid0(VALU_DEP_2) | instskip(SKIP_2) | instid1(VALU_DEP_1)
	v_rcp_f32_e32 v11, v9
	s_waitcnt_depctr 0xfff
	v_fma_f32 v12, -v9, v11, 1.0
	v_fmac_f32_e32 v11, v12, v11
	s_delay_alu instid0(VALU_DEP_1) | instskip(NEXT) | instid1(VALU_DEP_1)
	v_mul_f32_e32 v12, v13, v11
	v_fma_f32 v14, -v9, v12, v13
	s_delay_alu instid0(VALU_DEP_1) | instskip(NEXT) | instid1(VALU_DEP_1)
	v_fmac_f32_e32 v12, v14, v11
	v_fma_f32 v9, -v9, v12, v13
	s_delay_alu instid0(VALU_DEP_1) | instskip(NEXT) | instid1(VALU_DEP_1)
	v_div_fmas_f32 v9, v9, v11, v12
	v_div_fixup_f32 v8, v9, v10, v8
	global_store_b32 v[6:7], v8, off offset:4
	flat_load_b32 v8, v[4:5] offset:8
	s_waitcnt vmcnt(0) lgkmcnt(0)
	v_div_scale_f32 v9, null, v10, v10, v8
	v_div_scale_f32 v13, vcc_lo, v8, v10, v8
	s_delay_alu instid0(VALU_DEP_2) | instskip(SKIP_2) | instid1(VALU_DEP_1)
	v_rcp_f32_e32 v11, v9
	s_waitcnt_depctr 0xfff
	v_fma_f32 v12, -v9, v11, 1.0
	v_fmac_f32_e32 v11, v12, v11
	s_delay_alu instid0(VALU_DEP_1) | instskip(NEXT) | instid1(VALU_DEP_1)
	v_mul_f32_e32 v12, v13, v11
	v_fma_f32 v14, -v9, v12, v13
	s_delay_alu instid0(VALU_DEP_1) | instskip(NEXT) | instid1(VALU_DEP_1)
	v_fmac_f32_e32 v12, v14, v11
	v_fma_f32 v9, -v9, v12, v13
	s_delay_alu instid0(VALU_DEP_1) | instskip(NEXT) | instid1(VALU_DEP_1)
	v_div_fmas_f32 v9, v9, v11, v12
	v_div_fixup_f32 v8, v9, v10, v8
	global_store_b32 v[6:7], v8, off offset:8
	flat_load_b32 v8, v[4:5] offset:12
	;; [unrolled: 19-line block ×6, first 2 shown]
	s_waitcnt vmcnt(0) lgkmcnt(0)
	v_div_scale_f32 v5, null, v10, v10, v4
	v_div_scale_f32 v11, vcc_lo, v4, v10, v4
	s_delay_alu instid0(VALU_DEP_2) | instskip(SKIP_2) | instid1(VALU_DEP_1)
	v_rcp_f32_e32 v8, v5
	s_waitcnt_depctr 0xfff
	v_fma_f32 v9, -v5, v8, 1.0
	v_fmac_f32_e32 v8, v9, v8
	s_delay_alu instid0(VALU_DEP_1) | instskip(NEXT) | instid1(VALU_DEP_1)
	v_mul_f32_e32 v9, v11, v8
	v_fma_f32 v12, -v5, v9, v11
	s_delay_alu instid0(VALU_DEP_1) | instskip(NEXT) | instid1(VALU_DEP_1)
	v_fmac_f32_e32 v9, v12, v8
	v_fma_f32 v5, -v5, v9, v11
	s_delay_alu instid0(VALU_DEP_1) | instskip(NEXT) | instid1(VALU_DEP_1)
	v_div_fmas_f32 v5, v5, v8, v9
	v_div_fixup_f32 v4, v5, v10, v4
	global_store_b32 v[6:7], v4, off offset:28
	s_cbranch_scc1 .LBB3_213
.LBB3_214:
	s_and_b32 s2, s48, 7
	s_mov_b32 s3, 0
	s_delay_alu instid0(SALU_CYCLE_1)
	s_cmp_eq_u64 s[2:3], 0
	s_cbranch_scc1 .LBB3_217
; %bb.215:
	s_mov_b64 s[4:5], s[2:3]
	s_set_inst_prefetch_distance 0x1
	.p2align	6
.LBB3_216:                              ; =>This Inner Loop Header: Depth=1
	s_lshl_b64 s[6:7], s[0:1], 2
	s_add_i32 s2, s0, 1
	v_add_co_u32 v4, vcc_lo, v0, s6
	v_add_co_ci_u32_e32 v5, vcc_lo, s7, v1, vcc_lo
	s_add_u32 s4, s4, -1
	s_addc_u32 s5, s5, -1
	s_mov_b64 s[0:1], s[2:3]
	flat_load_b32 v6, v[4:5]
	s_cmp_lg_u64 s[4:5], 0
	s_waitcnt vmcnt(0) lgkmcnt(0)
	v_div_scale_f32 v4, null, v10, v10, v6
	v_div_scale_f32 v8, vcc_lo, v6, v10, v6
	s_delay_alu instid0(VALU_DEP_2) | instskip(SKIP_2) | instid1(VALU_DEP_1)
	v_rcp_f32_e32 v5, v4
	s_waitcnt_depctr 0xfff
	v_fma_f32 v7, -v4, v5, 1.0
	v_fmac_f32_e32 v5, v7, v5
	s_delay_alu instid0(VALU_DEP_1) | instskip(NEXT) | instid1(VALU_DEP_1)
	v_mul_f32_e32 v7, v8, v5
	v_fma_f32 v9, -v4, v7, v8
	s_delay_alu instid0(VALU_DEP_1) | instskip(NEXT) | instid1(VALU_DEP_1)
	v_fmac_f32_e32 v7, v9, v5
	v_fma_f32 v4, -v4, v7, v8
	s_delay_alu instid0(VALU_DEP_1) | instskip(SKIP_2) | instid1(VALU_DEP_3)
	v_div_fmas_f32 v7, v4, v5, v7
	v_add_co_u32 v4, vcc_lo, v2, s6
	v_add_co_ci_u32_e32 v5, vcc_lo, s7, v3, vcc_lo
	v_div_fixup_f32 v6, v7, v10, v6
	global_store_b32 v[4:5], v6, off
	s_cbranch_scc1 .LBB3_216
.LBB3_217:
	s_set_inst_prefetch_distance 0x2
	s_nop 0
	s_sendmsg sendmsg(MSG_DEALLOC_VGPRS)
	s_endpgm
	.section	.rodata,"a",@progbits
	.p2align	6, 0x0
	.amdhsa_kernel _Z21moe_fused_gate_kernelIfLi32ELi256ELi8ELi1EEvPvS0_PfPilllldi
		.amdhsa_group_segment_fixed_size 0
		.amdhsa_private_segment_fixed_size 0
		.amdhsa_kernarg_size 76
		.amdhsa_user_sgpr_count 15
		.amdhsa_user_sgpr_dispatch_ptr 0
		.amdhsa_user_sgpr_queue_ptr 0
		.amdhsa_user_sgpr_kernarg_segment_ptr 1
		.amdhsa_user_sgpr_dispatch_id 0
		.amdhsa_user_sgpr_private_segment_size 0
		.amdhsa_wavefront_size32 1
		.amdhsa_uses_dynamic_stack 0
		.amdhsa_enable_private_segment 0
		.amdhsa_system_sgpr_workgroup_id_x 1
		.amdhsa_system_sgpr_workgroup_id_y 0
		.amdhsa_system_sgpr_workgroup_id_z 0
		.amdhsa_system_sgpr_workgroup_info 0
		.amdhsa_system_vgpr_workitem_id 1
		.amdhsa_next_free_vgpr 81
		.amdhsa_next_free_sgpr 52
		.amdhsa_reserve_vcc 1
		.amdhsa_float_round_mode_32 0
		.amdhsa_float_round_mode_16_64 0
		.amdhsa_float_denorm_mode_32 3
		.amdhsa_float_denorm_mode_16_64 3
		.amdhsa_dx10_clamp 1
		.amdhsa_ieee_mode 1
		.amdhsa_fp16_overflow 0
		.amdhsa_workgroup_processor_mode 1
		.amdhsa_memory_ordered 1
		.amdhsa_forward_progress 0
		.amdhsa_shared_vgpr_count 0
		.amdhsa_exception_fp_ieee_invalid_op 0
		.amdhsa_exception_fp_denorm_src 0
		.amdhsa_exception_fp_ieee_div_zero 0
		.amdhsa_exception_fp_ieee_overflow 0
		.amdhsa_exception_fp_ieee_underflow 0
		.amdhsa_exception_fp_ieee_inexact 0
		.amdhsa_exception_int_div_zero 0
	.end_amdhsa_kernel
	.section	.text._Z21moe_fused_gate_kernelIfLi32ELi256ELi8ELi1EEvPvS0_PfPilllldi,"axG",@progbits,_Z21moe_fused_gate_kernelIfLi32ELi256ELi8ELi1EEvPvS0_PfPilllldi,comdat
.Lfunc_end3:
	.size	_Z21moe_fused_gate_kernelIfLi32ELi256ELi8ELi1EEvPvS0_PfPilllldi, .Lfunc_end3-_Z21moe_fused_gate_kernelIfLi32ELi256ELi8ELi1EEvPvS0_PfPilllldi
                                        ; -- End function
	.section	.AMDGPU.csdata,"",@progbits
; Kernel info:
; codeLenInByte = 13644
; NumSgprs: 54
; NumVgprs: 81
; ScratchSize: 0
; MemoryBound: 1
; FloatMode: 240
; IeeeMode: 1
; LDSByteSize: 0 bytes/workgroup (compile time only)
; SGPRBlocks: 6
; VGPRBlocks: 10
; NumSGPRsForWavesPerEU: 54
; NumVGPRsForWavesPerEU: 81
; Occupancy: 16
; WaveLimiterHint : 0
; COMPUTE_PGM_RSRC2:SCRATCH_EN: 0
; COMPUTE_PGM_RSRC2:USER_SGPR: 15
; COMPUTE_PGM_RSRC2:TRAP_HANDLER: 0
; COMPUTE_PGM_RSRC2:TGID_X_EN: 1
; COMPUTE_PGM_RSRC2:TGID_Y_EN: 0
; COMPUTE_PGM_RSRC2:TGID_Z_EN: 0
; COMPUTE_PGM_RSRC2:TIDIG_COMP_CNT: 1
	.section	.text._Z21moe_fused_gate_kernelItLi16ELi256ELi16ELi1EEvPvS0_PfPilllldi,"axG",@progbits,_Z21moe_fused_gate_kernelItLi16ELi256ELi16ELi1EEvPvS0_PfPilllldi,comdat
	.protected	_Z21moe_fused_gate_kernelItLi16ELi256ELi16ELi1EEvPvS0_PfPilllldi ; -- Begin function _Z21moe_fused_gate_kernelItLi16ELi256ELi16ELi1EEvPvS0_PfPilllldi
	.globl	_Z21moe_fused_gate_kernelItLi16ELi256ELi16ELi1EEvPvS0_PfPilllldi
	.p2align	8
	.type	_Z21moe_fused_gate_kernelItLi16ELi256ELi16ELi1EEvPvS0_PfPilllldi,@function
_Z21moe_fused_gate_kernelItLi16ELi256ELi16ELi1EEvPvS0_PfPilllldi: ; @_Z21moe_fused_gate_kernelItLi16ELi256ELi16ELi1EEvPvS0_PfPilllldi
; %bb.0:
	s_load_b512 s[16:31], s[0:1], 0x0
	v_bfe_u32 v1, v0, 10, 10
	v_dual_mov_b32 v19, 0 :: v_dual_and_b32 v0, 0x3ff, v0
	s_mov_b32 s2, exec_lo
	s_delay_alu instid0(VALU_DEP_2) | instskip(NEXT) | instid1(VALU_DEP_2)
	v_add_nc_u32_e32 v1, s15, v1
	v_lshrrev_b32_e32 v23, 4, v0
	s_delay_alu instid0(VALU_DEP_3) | instskip(NEXT) | instid1(VALU_DEP_2)
	v_mov_b32_e32 v17, v19
	v_lshl_add_u32 v16, v1, 1, v23
	s_waitcnt lgkmcnt(0)
	s_delay_alu instid0(VALU_DEP_1)
	v_cmpx_gt_i64_e64 s[24:25], v[16:17]
	s_cbranch_execz .LBB4_121
; %bb.1:
	v_and_b32_e32 v18, 15, v0
	v_lshlrev_b64 v[0:1], 9, v[16:17]
	s_mov_b32 s2, exec_lo
	s_delay_alu instid0(VALU_DEP_2) | instskip(NEXT) | instid1(VALU_DEP_2)
	v_lshlrev_b32_e32 v4, 5, v18
	v_add_co_u32 v0, vcc_lo, s16, v0
	s_delay_alu instid0(VALU_DEP_3) | instskip(NEXT) | instid1(VALU_DEP_2)
	v_add_co_ci_u32_e32 v1, vcc_lo, s17, v1, vcc_lo
	v_add_co_u32 v0, vcc_lo, v0, v4
	s_delay_alu instid0(VALU_DEP_2)
	v_add_co_ci_u32_e32 v1, vcc_lo, 0, v1, vcc_lo
	s_clause 0x1
	global_load_b128 v[12:15], v[0:1], off
	global_load_b128 v[8:11], v[0:1], off offset:16
	s_clause 0x1
	global_load_b128 v[0:3], v4, s[18:19] offset:16
	global_load_b128 v[4:7], v4, s[18:19]
	s_waitcnt vmcnt(3)
	v_lshlrev_b32_e32 v20, 16, v12
	s_delay_alu instid0(VALU_DEP_1)
	v_cmpx_o_f32_e32 v20, v20
	s_cbranch_execz .LBB4_3
; %bb.2:
	v_mul_f32_e32 v19, 0xbfb8aa3b, v20
	v_cmp_nlt_f32_e32 vcc_lo, 0x42ce8ed0, v20
	s_delay_alu instid0(VALU_DEP_2) | instskip(SKIP_1) | instid1(VALU_DEP_1)
	v_rndne_f32_e32 v21, v19
	v_fma_f32 v22, 0xbfb8aa3b, v20, -v19
	v_dual_sub_f32 v19, v19, v21 :: v_dual_fmamk_f32 v22, v20, 0xb2a5705f, v22
	v_cvt_i32_f32_e32 v21, v21
	s_delay_alu instid0(VALU_DEP_2) | instskip(NEXT) | instid1(VALU_DEP_1)
	v_add_f32_e32 v19, v19, v22
	v_exp_f32_e32 v19, v19
	s_waitcnt_depctr 0xfff
	v_ldexp_f32 v19, v19, v21
	s_delay_alu instid0(VALU_DEP_1) | instskip(SKIP_1) | instid1(VALU_DEP_2)
	v_cndmask_b32_e32 v19, 0, v19, vcc_lo
	v_cmp_ngt_f32_e32 vcc_lo, 0xc2b17218, v20
	v_cndmask_b32_e32 v19, 0x7f800000, v19, vcc_lo
	s_delay_alu instid0(VALU_DEP_1) | instskip(NEXT) | instid1(VALU_DEP_1)
	v_add_f32_e32 v19, 1.0, v19
	v_div_scale_f32 v20, null, v19, v19, 1.0
	s_delay_alu instid0(VALU_DEP_1) | instskip(SKIP_2) | instid1(VALU_DEP_1)
	v_rcp_f32_e32 v21, v20
	s_waitcnt_depctr 0xfff
	v_fma_f32 v22, -v20, v21, 1.0
	v_fmac_f32_e32 v21, v22, v21
	v_div_scale_f32 v22, vcc_lo, 1.0, v19, 1.0
	s_delay_alu instid0(VALU_DEP_1) | instskip(NEXT) | instid1(VALU_DEP_1)
	v_mul_f32_e32 v24, v22, v21
	v_fma_f32 v25, -v20, v24, v22
	s_delay_alu instid0(VALU_DEP_1) | instskip(NEXT) | instid1(VALU_DEP_1)
	v_fmac_f32_e32 v24, v25, v21
	v_fma_f32 v20, -v20, v24, v22
	s_delay_alu instid0(VALU_DEP_1) | instskip(NEXT) | instid1(VALU_DEP_1)
	v_div_fmas_f32 v20, v20, v21, v24
	v_div_fixup_f32 v19, v20, v19, 1.0
.LBB4_3:
	s_or_b32 exec_lo, exec_lo, s2
	v_dual_mov_b32 v12, 0 :: v_dual_and_b32 v21, 0xffff0000, v12
	v_mov_b32_e32 v20, 0
	s_mov_b32 s2, exec_lo
	s_delay_alu instid0(VALU_DEP_2)
	v_cmpx_o_f32_e32 v21, v21
	s_cbranch_execz .LBB4_5
; %bb.4:
	v_mul_f32_e32 v20, 0xbfb8aa3b, v21
	v_cmp_nlt_f32_e32 vcc_lo, 0x42ce8ed0, v21
	s_delay_alu instid0(VALU_DEP_2) | instskip(SKIP_1) | instid1(VALU_DEP_2)
	v_rndne_f32_e32 v22, v20
	v_fma_f32 v24, 0xbfb8aa3b, v21, -v20
	v_sub_f32_e32 v20, v20, v22
	s_delay_alu instid0(VALU_DEP_2) | instskip(SKIP_1) | instid1(VALU_DEP_2)
	v_fmamk_f32 v24, v21, 0xb2a5705f, v24
	v_cvt_i32_f32_e32 v22, v22
	v_add_f32_e32 v20, v20, v24
	s_delay_alu instid0(VALU_DEP_1) | instskip(SKIP_2) | instid1(VALU_DEP_1)
	v_exp_f32_e32 v20, v20
	s_waitcnt_depctr 0xfff
	v_ldexp_f32 v20, v20, v22
	v_cndmask_b32_e32 v20, 0, v20, vcc_lo
	v_cmp_ngt_f32_e32 vcc_lo, 0xc2b17218, v21
	s_delay_alu instid0(VALU_DEP_2) | instskip(NEXT) | instid1(VALU_DEP_1)
	v_cndmask_b32_e32 v20, 0x7f800000, v20, vcc_lo
	v_add_f32_e32 v20, 1.0, v20
	s_delay_alu instid0(VALU_DEP_1) | instskip(NEXT) | instid1(VALU_DEP_1)
	v_div_scale_f32 v21, null, v20, v20, 1.0
	v_rcp_f32_e32 v22, v21
	s_waitcnt_depctr 0xfff
	v_fma_f32 v24, -v21, v22, 1.0
	s_delay_alu instid0(VALU_DEP_1) | instskip(SKIP_1) | instid1(VALU_DEP_1)
	v_fmac_f32_e32 v22, v24, v22
	v_div_scale_f32 v24, vcc_lo, 1.0, v20, 1.0
	v_mul_f32_e32 v25, v24, v22
	s_delay_alu instid0(VALU_DEP_1) | instskip(NEXT) | instid1(VALU_DEP_1)
	v_fma_f32 v26, -v21, v25, v24
	v_fmac_f32_e32 v25, v26, v22
	s_delay_alu instid0(VALU_DEP_1) | instskip(NEXT) | instid1(VALU_DEP_1)
	v_fma_f32 v21, -v21, v25, v24
	v_div_fmas_f32 v21, v21, v22, v25
	s_delay_alu instid0(VALU_DEP_1)
	v_div_fixup_f32 v20, v21, v20, 1.0
.LBB4_5:
	s_or_b32 exec_lo, exec_lo, s2
	v_lshlrev_b32_e32 v21, 16, v13
	s_mov_b32 s2, exec_lo
	s_delay_alu instid0(VALU_DEP_1)
	v_cmpx_o_f32_e32 v21, v21
	s_cbranch_execz .LBB4_7
; %bb.6:
	v_mul_f32_e32 v12, 0xbfb8aa3b, v21
	v_cmp_nlt_f32_e32 vcc_lo, 0x42ce8ed0, v21
	s_delay_alu instid0(VALU_DEP_2) | instskip(SKIP_1) | instid1(VALU_DEP_2)
	v_rndne_f32_e32 v22, v12
	v_fma_f32 v24, 0xbfb8aa3b, v21, -v12
	v_sub_f32_e32 v12, v12, v22
	s_delay_alu instid0(VALU_DEP_2) | instskip(SKIP_1) | instid1(VALU_DEP_2)
	v_fmamk_f32 v24, v21, 0xb2a5705f, v24
	v_cvt_i32_f32_e32 v22, v22
	v_add_f32_e32 v12, v12, v24
	s_delay_alu instid0(VALU_DEP_1) | instskip(SKIP_2) | instid1(VALU_DEP_1)
	v_exp_f32_e32 v12, v12
	s_waitcnt_depctr 0xfff
	v_ldexp_f32 v12, v12, v22
	v_cndmask_b32_e32 v12, 0, v12, vcc_lo
	v_cmp_ngt_f32_e32 vcc_lo, 0xc2b17218, v21
	s_delay_alu instid0(VALU_DEP_2) | instskip(NEXT) | instid1(VALU_DEP_1)
	v_cndmask_b32_e32 v12, 0x7f800000, v12, vcc_lo
	v_add_f32_e32 v12, 1.0, v12
	s_delay_alu instid0(VALU_DEP_1) | instskip(NEXT) | instid1(VALU_DEP_1)
	v_div_scale_f32 v21, null, v12, v12, 1.0
	v_rcp_f32_e32 v22, v21
	s_waitcnt_depctr 0xfff
	v_fma_f32 v24, -v21, v22, 1.0
	s_delay_alu instid0(VALU_DEP_1) | instskip(SKIP_1) | instid1(VALU_DEP_1)
	v_fmac_f32_e32 v22, v24, v22
	v_div_scale_f32 v24, vcc_lo, 1.0, v12, 1.0
	v_mul_f32_e32 v25, v24, v22
	s_delay_alu instid0(VALU_DEP_1) | instskip(NEXT) | instid1(VALU_DEP_1)
	v_fma_f32 v26, -v21, v25, v24
	v_fmac_f32_e32 v25, v26, v22
	s_delay_alu instid0(VALU_DEP_1) | instskip(NEXT) | instid1(VALU_DEP_1)
	v_fma_f32 v21, -v21, v25, v24
	v_div_fmas_f32 v21, v21, v22, v25
	s_delay_alu instid0(VALU_DEP_1)
	v_div_fixup_f32 v12, v21, v12, 1.0
.LBB4_7:
	s_or_b32 exec_lo, exec_lo, s2
	v_dual_mov_b32 v13, 0 :: v_dual_and_b32 v22, 0xffff0000, v13
	v_mov_b32_e32 v21, 0
	s_mov_b32 s2, exec_lo
	s_delay_alu instid0(VALU_DEP_2)
	v_cmpx_o_f32_e32 v22, v22
	s_cbranch_execz .LBB4_9
; %bb.8:
	v_mul_f32_e32 v21, 0xbfb8aa3b, v22
	v_cmp_nlt_f32_e32 vcc_lo, 0x42ce8ed0, v22
	s_delay_alu instid0(VALU_DEP_2) | instskip(SKIP_1) | instid1(VALU_DEP_2)
	v_rndne_f32_e32 v24, v21
	v_fma_f32 v25, 0xbfb8aa3b, v22, -v21
	v_sub_f32_e32 v21, v21, v24
	s_delay_alu instid0(VALU_DEP_2) | instskip(SKIP_1) | instid1(VALU_DEP_2)
	v_fmamk_f32 v25, v22, 0xb2a5705f, v25
	v_cvt_i32_f32_e32 v24, v24
	v_add_f32_e32 v21, v21, v25
	s_delay_alu instid0(VALU_DEP_1) | instskip(SKIP_2) | instid1(VALU_DEP_1)
	v_exp_f32_e32 v21, v21
	s_waitcnt_depctr 0xfff
	v_ldexp_f32 v21, v21, v24
	v_cndmask_b32_e32 v21, 0, v21, vcc_lo
	v_cmp_ngt_f32_e32 vcc_lo, 0xc2b17218, v22
	s_delay_alu instid0(VALU_DEP_2) | instskip(NEXT) | instid1(VALU_DEP_1)
	v_cndmask_b32_e32 v21, 0x7f800000, v21, vcc_lo
	v_add_f32_e32 v21, 1.0, v21
	s_delay_alu instid0(VALU_DEP_1) | instskip(NEXT) | instid1(VALU_DEP_1)
	v_div_scale_f32 v22, null, v21, v21, 1.0
	v_rcp_f32_e32 v24, v22
	s_waitcnt_depctr 0xfff
	v_fma_f32 v25, -v22, v24, 1.0
	s_delay_alu instid0(VALU_DEP_1) | instskip(SKIP_1) | instid1(VALU_DEP_1)
	v_fmac_f32_e32 v24, v25, v24
	v_div_scale_f32 v25, vcc_lo, 1.0, v21, 1.0
	v_mul_f32_e32 v26, v25, v24
	s_delay_alu instid0(VALU_DEP_1) | instskip(NEXT) | instid1(VALU_DEP_1)
	v_fma_f32 v27, -v22, v26, v25
	v_fmac_f32_e32 v26, v27, v24
	s_delay_alu instid0(VALU_DEP_1) | instskip(NEXT) | instid1(VALU_DEP_1)
	v_fma_f32 v22, -v22, v26, v25
	v_div_fmas_f32 v22, v22, v24, v26
	s_delay_alu instid0(VALU_DEP_1)
	v_div_fixup_f32 v21, v22, v21, 1.0
.LBB4_9:
	s_or_b32 exec_lo, exec_lo, s2
	v_lshlrev_b32_e32 v22, 16, v14
	s_mov_b32 s2, exec_lo
	s_delay_alu instid0(VALU_DEP_1)
	v_cmpx_o_f32_e32 v22, v22
	s_cbranch_execz .LBB4_11
; %bb.10:
	v_mul_f32_e32 v13, 0xbfb8aa3b, v22
	v_cmp_nlt_f32_e32 vcc_lo, 0x42ce8ed0, v22
	s_delay_alu instid0(VALU_DEP_2) | instskip(SKIP_1) | instid1(VALU_DEP_2)
	v_rndne_f32_e32 v24, v13
	v_fma_f32 v25, 0xbfb8aa3b, v22, -v13
	v_sub_f32_e32 v13, v13, v24
	s_delay_alu instid0(VALU_DEP_2) | instskip(SKIP_1) | instid1(VALU_DEP_2)
	v_fmamk_f32 v25, v22, 0xb2a5705f, v25
	v_cvt_i32_f32_e32 v24, v24
	v_add_f32_e32 v13, v13, v25
	s_delay_alu instid0(VALU_DEP_1) | instskip(SKIP_2) | instid1(VALU_DEP_1)
	v_exp_f32_e32 v13, v13
	s_waitcnt_depctr 0xfff
	v_ldexp_f32 v13, v13, v24
	v_cndmask_b32_e32 v13, 0, v13, vcc_lo
	v_cmp_ngt_f32_e32 vcc_lo, 0xc2b17218, v22
	s_delay_alu instid0(VALU_DEP_2) | instskip(NEXT) | instid1(VALU_DEP_1)
	v_cndmask_b32_e32 v13, 0x7f800000, v13, vcc_lo
	v_add_f32_e32 v13, 1.0, v13
	s_delay_alu instid0(VALU_DEP_1) | instskip(NEXT) | instid1(VALU_DEP_1)
	v_div_scale_f32 v22, null, v13, v13, 1.0
	v_rcp_f32_e32 v24, v22
	s_waitcnt_depctr 0xfff
	v_fma_f32 v25, -v22, v24, 1.0
	s_delay_alu instid0(VALU_DEP_1) | instskip(SKIP_1) | instid1(VALU_DEP_1)
	v_fmac_f32_e32 v24, v25, v24
	v_div_scale_f32 v25, vcc_lo, 1.0, v13, 1.0
	v_mul_f32_e32 v26, v25, v24
	s_delay_alu instid0(VALU_DEP_1) | instskip(NEXT) | instid1(VALU_DEP_1)
	v_fma_f32 v27, -v22, v26, v25
	v_fmac_f32_e32 v26, v27, v24
	s_delay_alu instid0(VALU_DEP_1) | instskip(NEXT) | instid1(VALU_DEP_1)
	v_fma_f32 v22, -v22, v26, v25
	v_div_fmas_f32 v22, v22, v24, v26
	s_delay_alu instid0(VALU_DEP_1)
	v_div_fixup_f32 v13, v22, v13, 1.0
.LBB4_11:
	s_or_b32 exec_lo, exec_lo, s2
	v_and_b32_e32 v24, 0xffff0000, v14
	v_mov_b32_e32 v14, 0
	v_mov_b32_e32 v22, 0
	s_mov_b32 s2, exec_lo
	s_delay_alu instid0(VALU_DEP_3)
	v_cmpx_o_f32_e32 v24, v24
	s_cbranch_execz .LBB4_13
; %bb.12:
	v_mul_f32_e32 v22, 0xbfb8aa3b, v24
	v_cmp_nlt_f32_e32 vcc_lo, 0x42ce8ed0, v24
	s_delay_alu instid0(VALU_DEP_2) | instskip(SKIP_1) | instid1(VALU_DEP_2)
	v_rndne_f32_e32 v25, v22
	v_fma_f32 v26, 0xbfb8aa3b, v24, -v22
	v_sub_f32_e32 v22, v22, v25
	s_delay_alu instid0(VALU_DEP_2) | instskip(SKIP_1) | instid1(VALU_DEP_2)
	v_fmamk_f32 v26, v24, 0xb2a5705f, v26
	v_cvt_i32_f32_e32 v25, v25
	v_add_f32_e32 v22, v22, v26
	s_delay_alu instid0(VALU_DEP_1) | instskip(SKIP_2) | instid1(VALU_DEP_1)
	v_exp_f32_e32 v22, v22
	s_waitcnt_depctr 0xfff
	v_ldexp_f32 v22, v22, v25
	v_cndmask_b32_e32 v22, 0, v22, vcc_lo
	v_cmp_ngt_f32_e32 vcc_lo, 0xc2b17218, v24
	s_delay_alu instid0(VALU_DEP_2) | instskip(NEXT) | instid1(VALU_DEP_1)
	v_cndmask_b32_e32 v22, 0x7f800000, v22, vcc_lo
	v_add_f32_e32 v22, 1.0, v22
	s_delay_alu instid0(VALU_DEP_1) | instskip(NEXT) | instid1(VALU_DEP_1)
	v_div_scale_f32 v24, null, v22, v22, 1.0
	v_rcp_f32_e32 v25, v24
	s_waitcnt_depctr 0xfff
	v_fma_f32 v26, -v24, v25, 1.0
	s_delay_alu instid0(VALU_DEP_1) | instskip(SKIP_1) | instid1(VALU_DEP_1)
	v_fmac_f32_e32 v25, v26, v25
	v_div_scale_f32 v26, vcc_lo, 1.0, v22, 1.0
	v_mul_f32_e32 v27, v26, v25
	s_delay_alu instid0(VALU_DEP_1) | instskip(NEXT) | instid1(VALU_DEP_1)
	v_fma_f32 v28, -v24, v27, v26
	v_fmac_f32_e32 v27, v28, v25
	s_delay_alu instid0(VALU_DEP_1) | instskip(NEXT) | instid1(VALU_DEP_1)
	v_fma_f32 v24, -v24, v27, v26
	v_div_fmas_f32 v24, v24, v25, v27
	s_delay_alu instid0(VALU_DEP_1)
	v_div_fixup_f32 v22, v24, v22, 1.0
.LBB4_13:
	s_or_b32 exec_lo, exec_lo, s2
	v_lshlrev_b32_e32 v24, 16, v15
	s_mov_b32 s2, exec_lo
	s_delay_alu instid0(VALU_DEP_1)
	v_cmpx_o_f32_e32 v24, v24
	s_cbranch_execz .LBB4_15
; %bb.14:
	v_mul_f32_e32 v14, 0xbfb8aa3b, v24
	v_cmp_nlt_f32_e32 vcc_lo, 0x42ce8ed0, v24
	s_delay_alu instid0(VALU_DEP_2) | instskip(SKIP_1) | instid1(VALU_DEP_2)
	v_rndne_f32_e32 v25, v14
	v_fma_f32 v26, 0xbfb8aa3b, v24, -v14
	v_sub_f32_e32 v14, v14, v25
	s_delay_alu instid0(VALU_DEP_2) | instskip(SKIP_1) | instid1(VALU_DEP_2)
	v_fmamk_f32 v26, v24, 0xb2a5705f, v26
	v_cvt_i32_f32_e32 v25, v25
	v_add_f32_e32 v14, v14, v26
	s_delay_alu instid0(VALU_DEP_1) | instskip(SKIP_2) | instid1(VALU_DEP_1)
	v_exp_f32_e32 v14, v14
	s_waitcnt_depctr 0xfff
	v_ldexp_f32 v14, v14, v25
	v_cndmask_b32_e32 v14, 0, v14, vcc_lo
	v_cmp_ngt_f32_e32 vcc_lo, 0xc2b17218, v24
	s_delay_alu instid0(VALU_DEP_2) | instskip(NEXT) | instid1(VALU_DEP_1)
	v_cndmask_b32_e32 v14, 0x7f800000, v14, vcc_lo
	v_add_f32_e32 v14, 1.0, v14
	s_delay_alu instid0(VALU_DEP_1) | instskip(NEXT) | instid1(VALU_DEP_1)
	v_div_scale_f32 v24, null, v14, v14, 1.0
	v_rcp_f32_e32 v25, v24
	s_waitcnt_depctr 0xfff
	v_fma_f32 v26, -v24, v25, 1.0
	s_delay_alu instid0(VALU_DEP_1) | instskip(SKIP_1) | instid1(VALU_DEP_1)
	v_fmac_f32_e32 v25, v26, v25
	v_div_scale_f32 v26, vcc_lo, 1.0, v14, 1.0
	v_mul_f32_e32 v27, v26, v25
	s_delay_alu instid0(VALU_DEP_1) | instskip(NEXT) | instid1(VALU_DEP_1)
	v_fma_f32 v28, -v24, v27, v26
	v_fmac_f32_e32 v27, v28, v25
	s_delay_alu instid0(VALU_DEP_1) | instskip(NEXT) | instid1(VALU_DEP_1)
	v_fma_f32 v24, -v24, v27, v26
	v_div_fmas_f32 v24, v24, v25, v27
	s_delay_alu instid0(VALU_DEP_1)
	v_div_fixup_f32 v14, v24, v14, 1.0
.LBB4_15:
	s_or_b32 exec_lo, exec_lo, s2
	v_dual_mov_b32 v24, 0 :: v_dual_and_b32 v25, 0xffff0000, v15
	v_mov_b32_e32 v15, 0
	s_mov_b32 s2, exec_lo
	s_delay_alu instid0(VALU_DEP_2)
	v_cmpx_o_f32_e32 v25, v25
	s_cbranch_execz .LBB4_17
; %bb.16:
	v_mul_f32_e32 v24, 0xbfb8aa3b, v25
	v_cmp_nlt_f32_e32 vcc_lo, 0x42ce8ed0, v25
	s_delay_alu instid0(VALU_DEP_2) | instskip(SKIP_1) | instid1(VALU_DEP_1)
	v_rndne_f32_e32 v26, v24
	v_fma_f32 v27, 0xbfb8aa3b, v25, -v24
	v_dual_sub_f32 v24, v24, v26 :: v_dual_fmamk_f32 v27, v25, 0xb2a5705f, v27
	v_cvt_i32_f32_e32 v26, v26
	s_delay_alu instid0(VALU_DEP_2) | instskip(NEXT) | instid1(VALU_DEP_1)
	v_add_f32_e32 v24, v24, v27
	v_exp_f32_e32 v24, v24
	s_waitcnt_depctr 0xfff
	v_ldexp_f32 v24, v24, v26
	s_delay_alu instid0(VALU_DEP_1) | instskip(SKIP_1) | instid1(VALU_DEP_2)
	v_cndmask_b32_e32 v24, 0, v24, vcc_lo
	v_cmp_ngt_f32_e32 vcc_lo, 0xc2b17218, v25
	v_cndmask_b32_e32 v24, 0x7f800000, v24, vcc_lo
	s_delay_alu instid0(VALU_DEP_1) | instskip(NEXT) | instid1(VALU_DEP_1)
	v_add_f32_e32 v24, 1.0, v24
	v_div_scale_f32 v25, null, v24, v24, 1.0
	s_delay_alu instid0(VALU_DEP_1) | instskip(SKIP_2) | instid1(VALU_DEP_1)
	v_rcp_f32_e32 v26, v25
	s_waitcnt_depctr 0xfff
	v_fma_f32 v27, -v25, v26, 1.0
	v_fmac_f32_e32 v26, v27, v26
	v_div_scale_f32 v27, vcc_lo, 1.0, v24, 1.0
	s_delay_alu instid0(VALU_DEP_1) | instskip(NEXT) | instid1(VALU_DEP_1)
	v_mul_f32_e32 v28, v27, v26
	v_fma_f32 v29, -v25, v28, v27
	s_delay_alu instid0(VALU_DEP_1) | instskip(NEXT) | instid1(VALU_DEP_1)
	v_fmac_f32_e32 v28, v29, v26
	v_fma_f32 v25, -v25, v28, v27
	s_delay_alu instid0(VALU_DEP_1) | instskip(NEXT) | instid1(VALU_DEP_1)
	v_div_fmas_f32 v25, v25, v26, v28
	v_div_fixup_f32 v24, v25, v24, 1.0
.LBB4_17:
	s_or_b32 exec_lo, exec_lo, s2
	s_waitcnt vmcnt(2)
	v_lshlrev_b32_e32 v25, 16, v8
	s_mov_b32 s2, exec_lo
	s_delay_alu instid0(VALU_DEP_1)
	v_cmpx_o_f32_e32 v25, v25
	s_cbranch_execz .LBB4_19
; %bb.18:
	v_mul_f32_e32 v15, 0xbfb8aa3b, v25
	v_cmp_nlt_f32_e32 vcc_lo, 0x42ce8ed0, v25
	s_delay_alu instid0(VALU_DEP_2) | instskip(SKIP_1) | instid1(VALU_DEP_2)
	v_rndne_f32_e32 v26, v15
	v_fma_f32 v27, 0xbfb8aa3b, v25, -v15
	v_sub_f32_e32 v15, v15, v26
	s_delay_alu instid0(VALU_DEP_2) | instskip(SKIP_1) | instid1(VALU_DEP_2)
	v_fmamk_f32 v27, v25, 0xb2a5705f, v27
	v_cvt_i32_f32_e32 v26, v26
	v_add_f32_e32 v15, v15, v27
	s_delay_alu instid0(VALU_DEP_1) | instskip(SKIP_2) | instid1(VALU_DEP_1)
	v_exp_f32_e32 v15, v15
	s_waitcnt_depctr 0xfff
	v_ldexp_f32 v15, v15, v26
	v_cndmask_b32_e32 v15, 0, v15, vcc_lo
	v_cmp_ngt_f32_e32 vcc_lo, 0xc2b17218, v25
	s_delay_alu instid0(VALU_DEP_2) | instskip(NEXT) | instid1(VALU_DEP_1)
	v_cndmask_b32_e32 v15, 0x7f800000, v15, vcc_lo
	v_add_f32_e32 v15, 1.0, v15
	s_delay_alu instid0(VALU_DEP_1) | instskip(NEXT) | instid1(VALU_DEP_1)
	v_div_scale_f32 v25, null, v15, v15, 1.0
	v_rcp_f32_e32 v26, v25
	s_waitcnt_depctr 0xfff
	v_fma_f32 v27, -v25, v26, 1.0
	s_delay_alu instid0(VALU_DEP_1) | instskip(SKIP_1) | instid1(VALU_DEP_1)
	v_fmac_f32_e32 v26, v27, v26
	v_div_scale_f32 v27, vcc_lo, 1.0, v15, 1.0
	v_mul_f32_e32 v28, v27, v26
	s_delay_alu instid0(VALU_DEP_1) | instskip(NEXT) | instid1(VALU_DEP_1)
	v_fma_f32 v29, -v25, v28, v27
	v_fmac_f32_e32 v28, v29, v26
	s_delay_alu instid0(VALU_DEP_1) | instskip(NEXT) | instid1(VALU_DEP_1)
	v_fma_f32 v25, -v25, v28, v27
	v_div_fmas_f32 v25, v25, v26, v28
	s_delay_alu instid0(VALU_DEP_1)
	v_div_fixup_f32 v15, v25, v15, 1.0
.LBB4_19:
	s_or_b32 exec_lo, exec_lo, s2
	v_dual_mov_b32 v25, 0 :: v_dual_and_b32 v26, 0xffff0000, v8
	v_mov_b32_e32 v8, 0
	s_mov_b32 s2, exec_lo
	s_delay_alu instid0(VALU_DEP_2)
	v_cmpx_o_f32_e32 v26, v26
	s_cbranch_execz .LBB4_21
; %bb.20:
	v_mul_f32_e32 v25, 0xbfb8aa3b, v26
	v_cmp_nlt_f32_e32 vcc_lo, 0x42ce8ed0, v26
	s_delay_alu instid0(VALU_DEP_2) | instskip(SKIP_1) | instid1(VALU_DEP_1)
	v_rndne_f32_e32 v27, v25
	v_fma_f32 v28, 0xbfb8aa3b, v26, -v25
	v_dual_sub_f32 v25, v25, v27 :: v_dual_fmamk_f32 v28, v26, 0xb2a5705f, v28
	v_cvt_i32_f32_e32 v27, v27
	s_delay_alu instid0(VALU_DEP_2) | instskip(NEXT) | instid1(VALU_DEP_1)
	v_add_f32_e32 v25, v25, v28
	v_exp_f32_e32 v25, v25
	s_waitcnt_depctr 0xfff
	v_ldexp_f32 v25, v25, v27
	s_delay_alu instid0(VALU_DEP_1) | instskip(SKIP_1) | instid1(VALU_DEP_2)
	v_cndmask_b32_e32 v25, 0, v25, vcc_lo
	v_cmp_ngt_f32_e32 vcc_lo, 0xc2b17218, v26
	v_cndmask_b32_e32 v25, 0x7f800000, v25, vcc_lo
	s_delay_alu instid0(VALU_DEP_1) | instskip(NEXT) | instid1(VALU_DEP_1)
	v_add_f32_e32 v25, 1.0, v25
	v_div_scale_f32 v26, null, v25, v25, 1.0
	s_delay_alu instid0(VALU_DEP_1) | instskip(SKIP_2) | instid1(VALU_DEP_1)
	v_rcp_f32_e32 v27, v26
	s_waitcnt_depctr 0xfff
	v_fma_f32 v28, -v26, v27, 1.0
	v_fmac_f32_e32 v27, v28, v27
	v_div_scale_f32 v28, vcc_lo, 1.0, v25, 1.0
	s_delay_alu instid0(VALU_DEP_1) | instskip(NEXT) | instid1(VALU_DEP_1)
	v_mul_f32_e32 v29, v28, v27
	v_fma_f32 v30, -v26, v29, v28
	s_delay_alu instid0(VALU_DEP_1) | instskip(NEXT) | instid1(VALU_DEP_1)
	v_fmac_f32_e32 v29, v30, v27
	v_fma_f32 v26, -v26, v29, v28
	s_delay_alu instid0(VALU_DEP_1) | instskip(NEXT) | instid1(VALU_DEP_1)
	v_div_fmas_f32 v26, v26, v27, v29
	v_div_fixup_f32 v25, v26, v25, 1.0
.LBB4_21:
	s_or_b32 exec_lo, exec_lo, s2
	v_lshlrev_b32_e32 v26, 16, v9
	s_mov_b32 s2, exec_lo
	s_delay_alu instid0(VALU_DEP_1)
	v_cmpx_o_f32_e32 v26, v26
	s_cbranch_execz .LBB4_23
; %bb.22:
	v_mul_f32_e32 v8, 0xbfb8aa3b, v26
	v_cmp_nlt_f32_e32 vcc_lo, 0x42ce8ed0, v26
	s_delay_alu instid0(VALU_DEP_2) | instskip(SKIP_1) | instid1(VALU_DEP_2)
	v_rndne_f32_e32 v27, v8
	v_fma_f32 v28, 0xbfb8aa3b, v26, -v8
	v_sub_f32_e32 v8, v8, v27
	s_delay_alu instid0(VALU_DEP_2) | instskip(SKIP_1) | instid1(VALU_DEP_2)
	v_fmamk_f32 v28, v26, 0xb2a5705f, v28
	v_cvt_i32_f32_e32 v27, v27
	v_add_f32_e32 v8, v8, v28
	s_delay_alu instid0(VALU_DEP_1) | instskip(SKIP_2) | instid1(VALU_DEP_1)
	v_exp_f32_e32 v8, v8
	s_waitcnt_depctr 0xfff
	v_ldexp_f32 v8, v8, v27
	v_cndmask_b32_e32 v8, 0, v8, vcc_lo
	v_cmp_ngt_f32_e32 vcc_lo, 0xc2b17218, v26
	s_delay_alu instid0(VALU_DEP_2) | instskip(NEXT) | instid1(VALU_DEP_1)
	v_cndmask_b32_e32 v8, 0x7f800000, v8, vcc_lo
	v_add_f32_e32 v8, 1.0, v8
	s_delay_alu instid0(VALU_DEP_1) | instskip(NEXT) | instid1(VALU_DEP_1)
	v_div_scale_f32 v26, null, v8, v8, 1.0
	v_rcp_f32_e32 v27, v26
	s_waitcnt_depctr 0xfff
	v_fma_f32 v28, -v26, v27, 1.0
	s_delay_alu instid0(VALU_DEP_1) | instskip(SKIP_1) | instid1(VALU_DEP_1)
	v_fmac_f32_e32 v27, v28, v27
	v_div_scale_f32 v28, vcc_lo, 1.0, v8, 1.0
	v_mul_f32_e32 v29, v28, v27
	s_delay_alu instid0(VALU_DEP_1) | instskip(NEXT) | instid1(VALU_DEP_1)
	v_fma_f32 v30, -v26, v29, v28
	v_fmac_f32_e32 v29, v30, v27
	s_delay_alu instid0(VALU_DEP_1) | instskip(NEXT) | instid1(VALU_DEP_1)
	v_fma_f32 v26, -v26, v29, v28
	v_div_fmas_f32 v26, v26, v27, v29
	s_delay_alu instid0(VALU_DEP_1)
	v_div_fixup_f32 v8, v26, v8, 1.0
.LBB4_23:
	s_or_b32 exec_lo, exec_lo, s2
	v_dual_mov_b32 v26, 0 :: v_dual_and_b32 v27, 0xffff0000, v9
	v_mov_b32_e32 v9, 0
	s_mov_b32 s2, exec_lo
	s_delay_alu instid0(VALU_DEP_2)
	v_cmpx_o_f32_e32 v27, v27
	s_cbranch_execz .LBB4_25
; %bb.24:
	v_mul_f32_e32 v26, 0xbfb8aa3b, v27
	v_cmp_nlt_f32_e32 vcc_lo, 0x42ce8ed0, v27
	s_delay_alu instid0(VALU_DEP_2) | instskip(SKIP_1) | instid1(VALU_DEP_1)
	v_rndne_f32_e32 v28, v26
	v_fma_f32 v29, 0xbfb8aa3b, v27, -v26
	v_dual_sub_f32 v26, v26, v28 :: v_dual_fmamk_f32 v29, v27, 0xb2a5705f, v29
	v_cvt_i32_f32_e32 v28, v28
	s_delay_alu instid0(VALU_DEP_2) | instskip(NEXT) | instid1(VALU_DEP_1)
	v_add_f32_e32 v26, v26, v29
	v_exp_f32_e32 v26, v26
	s_waitcnt_depctr 0xfff
	v_ldexp_f32 v26, v26, v28
	s_delay_alu instid0(VALU_DEP_1) | instskip(SKIP_1) | instid1(VALU_DEP_2)
	v_cndmask_b32_e32 v26, 0, v26, vcc_lo
	v_cmp_ngt_f32_e32 vcc_lo, 0xc2b17218, v27
	v_cndmask_b32_e32 v26, 0x7f800000, v26, vcc_lo
	s_delay_alu instid0(VALU_DEP_1) | instskip(NEXT) | instid1(VALU_DEP_1)
	v_add_f32_e32 v26, 1.0, v26
	v_div_scale_f32 v27, null, v26, v26, 1.0
	s_delay_alu instid0(VALU_DEP_1) | instskip(SKIP_2) | instid1(VALU_DEP_1)
	v_rcp_f32_e32 v28, v27
	s_waitcnt_depctr 0xfff
	v_fma_f32 v29, -v27, v28, 1.0
	v_fmac_f32_e32 v28, v29, v28
	v_div_scale_f32 v29, vcc_lo, 1.0, v26, 1.0
	s_delay_alu instid0(VALU_DEP_1) | instskip(NEXT) | instid1(VALU_DEP_1)
	v_mul_f32_e32 v30, v29, v28
	v_fma_f32 v31, -v27, v30, v29
	s_delay_alu instid0(VALU_DEP_1) | instskip(NEXT) | instid1(VALU_DEP_1)
	v_fmac_f32_e32 v30, v31, v28
	v_fma_f32 v27, -v27, v30, v29
	s_delay_alu instid0(VALU_DEP_1) | instskip(NEXT) | instid1(VALU_DEP_1)
	v_div_fmas_f32 v27, v27, v28, v30
	v_div_fixup_f32 v26, v27, v26, 1.0
.LBB4_25:
	s_or_b32 exec_lo, exec_lo, s2
	v_lshlrev_b32_e32 v27, 16, v10
	s_mov_b32 s2, exec_lo
	s_delay_alu instid0(VALU_DEP_1)
	v_cmpx_o_f32_e32 v27, v27
	s_cbranch_execz .LBB4_27
; %bb.26:
	v_mul_f32_e32 v9, 0xbfb8aa3b, v27
	v_cmp_nlt_f32_e32 vcc_lo, 0x42ce8ed0, v27
	s_delay_alu instid0(VALU_DEP_2) | instskip(SKIP_1) | instid1(VALU_DEP_2)
	v_rndne_f32_e32 v28, v9
	v_fma_f32 v29, 0xbfb8aa3b, v27, -v9
	v_sub_f32_e32 v9, v9, v28
	s_delay_alu instid0(VALU_DEP_2) | instskip(SKIP_1) | instid1(VALU_DEP_2)
	v_fmamk_f32 v29, v27, 0xb2a5705f, v29
	v_cvt_i32_f32_e32 v28, v28
	v_add_f32_e32 v9, v9, v29
	s_delay_alu instid0(VALU_DEP_1) | instskip(SKIP_2) | instid1(VALU_DEP_1)
	v_exp_f32_e32 v9, v9
	s_waitcnt_depctr 0xfff
	v_ldexp_f32 v9, v9, v28
	v_cndmask_b32_e32 v9, 0, v9, vcc_lo
	v_cmp_ngt_f32_e32 vcc_lo, 0xc2b17218, v27
	s_delay_alu instid0(VALU_DEP_2) | instskip(NEXT) | instid1(VALU_DEP_1)
	v_cndmask_b32_e32 v9, 0x7f800000, v9, vcc_lo
	v_add_f32_e32 v9, 1.0, v9
	s_delay_alu instid0(VALU_DEP_1) | instskip(NEXT) | instid1(VALU_DEP_1)
	v_div_scale_f32 v27, null, v9, v9, 1.0
	v_rcp_f32_e32 v28, v27
	s_waitcnt_depctr 0xfff
	v_fma_f32 v29, -v27, v28, 1.0
	s_delay_alu instid0(VALU_DEP_1) | instskip(SKIP_1) | instid1(VALU_DEP_1)
	v_fmac_f32_e32 v28, v29, v28
	v_div_scale_f32 v29, vcc_lo, 1.0, v9, 1.0
	v_mul_f32_e32 v30, v29, v28
	s_delay_alu instid0(VALU_DEP_1) | instskip(NEXT) | instid1(VALU_DEP_1)
	v_fma_f32 v31, -v27, v30, v29
	v_fmac_f32_e32 v30, v31, v28
	s_delay_alu instid0(VALU_DEP_1) | instskip(NEXT) | instid1(VALU_DEP_1)
	v_fma_f32 v27, -v27, v30, v29
	v_div_fmas_f32 v27, v27, v28, v30
	s_delay_alu instid0(VALU_DEP_1)
	v_div_fixup_f32 v9, v27, v9, 1.0
.LBB4_27:
	s_or_b32 exec_lo, exec_lo, s2
	v_dual_mov_b32 v27, 0 :: v_dual_and_b32 v28, 0xffff0000, v10
	v_mov_b32_e32 v10, 0
	s_mov_b32 s2, exec_lo
	s_delay_alu instid0(VALU_DEP_2)
	v_cmpx_o_f32_e32 v28, v28
	s_cbranch_execz .LBB4_29
; %bb.28:
	v_mul_f32_e32 v27, 0xbfb8aa3b, v28
	v_cmp_nlt_f32_e32 vcc_lo, 0x42ce8ed0, v28
	s_delay_alu instid0(VALU_DEP_2) | instskip(SKIP_1) | instid1(VALU_DEP_1)
	v_rndne_f32_e32 v29, v27
	v_fma_f32 v30, 0xbfb8aa3b, v28, -v27
	v_dual_sub_f32 v27, v27, v29 :: v_dual_fmamk_f32 v30, v28, 0xb2a5705f, v30
	v_cvt_i32_f32_e32 v29, v29
	s_delay_alu instid0(VALU_DEP_2) | instskip(NEXT) | instid1(VALU_DEP_1)
	v_add_f32_e32 v27, v27, v30
	v_exp_f32_e32 v27, v27
	s_waitcnt_depctr 0xfff
	v_ldexp_f32 v27, v27, v29
	s_delay_alu instid0(VALU_DEP_1) | instskip(SKIP_1) | instid1(VALU_DEP_2)
	v_cndmask_b32_e32 v27, 0, v27, vcc_lo
	v_cmp_ngt_f32_e32 vcc_lo, 0xc2b17218, v28
	v_cndmask_b32_e32 v27, 0x7f800000, v27, vcc_lo
	s_delay_alu instid0(VALU_DEP_1) | instskip(NEXT) | instid1(VALU_DEP_1)
	v_add_f32_e32 v27, 1.0, v27
	v_div_scale_f32 v28, null, v27, v27, 1.0
	s_delay_alu instid0(VALU_DEP_1) | instskip(SKIP_2) | instid1(VALU_DEP_1)
	v_rcp_f32_e32 v29, v28
	s_waitcnt_depctr 0xfff
	v_fma_f32 v30, -v28, v29, 1.0
	v_fmac_f32_e32 v29, v30, v29
	v_div_scale_f32 v30, vcc_lo, 1.0, v27, 1.0
	s_delay_alu instid0(VALU_DEP_1) | instskip(NEXT) | instid1(VALU_DEP_1)
	v_mul_f32_e32 v31, v30, v29
	v_fma_f32 v32, -v28, v31, v30
	s_delay_alu instid0(VALU_DEP_1) | instskip(NEXT) | instid1(VALU_DEP_1)
	v_fmac_f32_e32 v31, v32, v29
	v_fma_f32 v28, -v28, v31, v30
	s_delay_alu instid0(VALU_DEP_1) | instskip(NEXT) | instid1(VALU_DEP_1)
	v_div_fmas_f32 v28, v28, v29, v31
	v_div_fixup_f32 v27, v28, v27, 1.0
.LBB4_29:
	s_or_b32 exec_lo, exec_lo, s2
	v_lshlrev_b32_e32 v28, 16, v11
	s_mov_b32 s2, exec_lo
	s_delay_alu instid0(VALU_DEP_1)
	v_cmpx_o_f32_e32 v28, v28
	s_cbranch_execz .LBB4_31
; %bb.30:
	v_mul_f32_e32 v10, 0xbfb8aa3b, v28
	v_cmp_nlt_f32_e32 vcc_lo, 0x42ce8ed0, v28
	s_delay_alu instid0(VALU_DEP_2) | instskip(SKIP_1) | instid1(VALU_DEP_2)
	v_rndne_f32_e32 v29, v10
	v_fma_f32 v30, 0xbfb8aa3b, v28, -v10
	v_sub_f32_e32 v10, v10, v29
	s_delay_alu instid0(VALU_DEP_2) | instskip(SKIP_1) | instid1(VALU_DEP_2)
	v_fmamk_f32 v30, v28, 0xb2a5705f, v30
	v_cvt_i32_f32_e32 v29, v29
	v_add_f32_e32 v10, v10, v30
	s_delay_alu instid0(VALU_DEP_1) | instskip(SKIP_2) | instid1(VALU_DEP_1)
	v_exp_f32_e32 v10, v10
	s_waitcnt_depctr 0xfff
	v_ldexp_f32 v10, v10, v29
	v_cndmask_b32_e32 v10, 0, v10, vcc_lo
	v_cmp_ngt_f32_e32 vcc_lo, 0xc2b17218, v28
	s_delay_alu instid0(VALU_DEP_2) | instskip(NEXT) | instid1(VALU_DEP_1)
	v_cndmask_b32_e32 v10, 0x7f800000, v10, vcc_lo
	v_add_f32_e32 v10, 1.0, v10
	s_delay_alu instid0(VALU_DEP_1) | instskip(NEXT) | instid1(VALU_DEP_1)
	v_div_scale_f32 v28, null, v10, v10, 1.0
	v_rcp_f32_e32 v29, v28
	s_waitcnt_depctr 0xfff
	v_fma_f32 v30, -v28, v29, 1.0
	s_delay_alu instid0(VALU_DEP_1) | instskip(SKIP_1) | instid1(VALU_DEP_1)
	v_fmac_f32_e32 v29, v30, v29
	v_div_scale_f32 v30, vcc_lo, 1.0, v10, 1.0
	v_mul_f32_e32 v31, v30, v29
	s_delay_alu instid0(VALU_DEP_1) | instskip(NEXT) | instid1(VALU_DEP_1)
	v_fma_f32 v32, -v28, v31, v30
	v_fmac_f32_e32 v31, v32, v29
	s_delay_alu instid0(VALU_DEP_1) | instskip(NEXT) | instid1(VALU_DEP_1)
	v_fma_f32 v28, -v28, v31, v30
	v_div_fmas_f32 v28, v28, v29, v31
	s_delay_alu instid0(VALU_DEP_1)
	v_div_fixup_f32 v10, v28, v10, 1.0
.LBB4_31:
	s_or_b32 exec_lo, exec_lo, s2
	v_dual_mov_b32 v11, 0 :: v_dual_and_b32 v28, 0xffff0000, v11
	s_mov_b32 s2, exec_lo
	s_delay_alu instid0(VALU_DEP_1)
	v_cmpx_o_f32_e32 v28, v28
	s_cbranch_execz .LBB4_33
; %bb.32:
	v_mul_f32_e32 v11, 0xbfb8aa3b, v28
	v_cmp_nlt_f32_e32 vcc_lo, 0x42ce8ed0, v28
	s_delay_alu instid0(VALU_DEP_2) | instskip(SKIP_1) | instid1(VALU_DEP_1)
	v_rndne_f32_e32 v29, v11
	v_fma_f32 v30, 0xbfb8aa3b, v28, -v11
	v_dual_sub_f32 v11, v11, v29 :: v_dual_fmamk_f32 v30, v28, 0xb2a5705f, v30
	v_cvt_i32_f32_e32 v29, v29
	s_delay_alu instid0(VALU_DEP_2) | instskip(NEXT) | instid1(VALU_DEP_1)
	v_add_f32_e32 v11, v11, v30
	v_exp_f32_e32 v11, v11
	s_waitcnt_depctr 0xfff
	v_ldexp_f32 v11, v11, v29
	s_delay_alu instid0(VALU_DEP_1) | instskip(SKIP_1) | instid1(VALU_DEP_2)
	v_cndmask_b32_e32 v11, 0, v11, vcc_lo
	v_cmp_ngt_f32_e32 vcc_lo, 0xc2b17218, v28
	v_cndmask_b32_e32 v11, 0x7f800000, v11, vcc_lo
	s_delay_alu instid0(VALU_DEP_1) | instskip(NEXT) | instid1(VALU_DEP_1)
	v_add_f32_e32 v11, 1.0, v11
	v_div_scale_f32 v28, null, v11, v11, 1.0
	s_delay_alu instid0(VALU_DEP_1) | instskip(SKIP_2) | instid1(VALU_DEP_1)
	v_rcp_f32_e32 v29, v28
	s_waitcnt_depctr 0xfff
	v_fma_f32 v30, -v28, v29, 1.0
	v_fmac_f32_e32 v29, v30, v29
	v_div_scale_f32 v30, vcc_lo, 1.0, v11, 1.0
	s_delay_alu instid0(VALU_DEP_1) | instskip(NEXT) | instid1(VALU_DEP_1)
	v_mul_f32_e32 v31, v30, v29
	v_fma_f32 v32, -v28, v31, v30
	s_delay_alu instid0(VALU_DEP_1) | instskip(NEXT) | instid1(VALU_DEP_1)
	v_fmac_f32_e32 v31, v32, v29
	v_fma_f32 v28, -v28, v31, v30
	s_delay_alu instid0(VALU_DEP_1) | instskip(NEXT) | instid1(VALU_DEP_1)
	v_div_fmas_f32 v28, v28, v29, v31
	v_div_fixup_f32 v11, v28, v11, 1.0
.LBB4_33:
	s_or_b32 exec_lo, exec_lo, s2
	s_waitcnt vmcnt(0)
	v_lshlrev_b32_e32 v28, 16, v4
	v_and_b32_e32 v4, 0xffff0000, v4
	s_mov_b32 s2, exec_lo
	s_delay_alu instid0(VALU_DEP_1) | instskip(NEXT) | instid1(VALU_DEP_1)
	v_add_f32_e32 v29, v20, v4
	v_dual_mov_b32 v31, v29 :: v_dual_add_f32 v28, v19, v28
	s_delay_alu instid0(VALU_DEP_1) | instskip(NEXT) | instid1(VALU_DEP_1)
	v_max_f32_e32 v30, 0xff7fffff, v28
	v_mov_b32_e32 v4, v30
	v_cmpx_ngt_f32_e32 v29, v30
	s_cbranch_execz .LBB4_37
; %bb.34:
	v_mov_b32_e32 v4, 0xff7fffff
	s_mov_b32 s3, exec_lo
	v_cmpx_lt_f32_e32 0xff7fffff, v29
; %bb.35:
	v_mov_b32_e32 v4, v29
; %bb.36:
	s_or_b32 exec_lo, exec_lo, s3
	v_mov_b32_e32 v31, v30
.LBB4_37:
	s_or_b32 exec_lo, exec_lo, s2
	v_lshlrev_b32_e32 v30, 16, v5
	s_mov_b32 s2, exec_lo
	s_delay_alu instid0(VALU_DEP_1) | instskip(NEXT) | instid1(VALU_DEP_1)
	v_add_f32_e32 v30, v12, v30
	v_dual_mov_b32 v32, v31 :: v_dual_mov_b32 v33, v30
	v_cmpx_ngt_f32_e32 v30, v31
	s_cbranch_execz .LBB4_41
; %bb.38:
	s_mov_b32 s3, exec_lo
	v_cmpx_gt_f32_e32 v30, v4
; %bb.39:
	v_mov_b32_e32 v4, v30
; %bb.40:
	s_or_b32 exec_lo, exec_lo, s3
	s_delay_alu instid0(VALU_DEP_1)
	v_dual_mov_b32 v32, v4 :: v_dual_mov_b32 v33, v31
.LBB4_41:
	s_or_b32 exec_lo, exec_lo, s2
	v_and_b32_e32 v4, 0xffff0000, v5
	s_mov_b32 s2, exec_lo
	s_delay_alu instid0(VALU_DEP_1) | instskip(SKIP_1) | instid1(VALU_DEP_2)
	v_add_f32_e32 v31, v21, v4
	v_mov_b32_e32 v4, v33
	v_mov_b32_e32 v34, v31
	v_cmpx_ngt_f32_e32 v31, v33
	s_cbranch_execz .LBB4_45
; %bb.42:
	s_mov_b32 s3, exec_lo
	v_cmpx_gt_f32_e32 v31, v32
; %bb.43:
	v_mov_b32_e32 v32, v31
; %bb.44:
	s_or_b32 exec_lo, exec_lo, s3
	s_delay_alu instid0(VALU_DEP_1)
	v_mov_b32_e32 v4, v32
	v_mov_b32_e32 v34, v33
.LBB4_45:
	s_or_b32 exec_lo, exec_lo, s2
	v_lshlrev_b32_e32 v5, 16, v6
	s_mov_b32 s2, exec_lo
	s_delay_alu instid0(VALU_DEP_1) | instskip(NEXT) | instid1(VALU_DEP_1)
	v_dual_add_f32 v32, v13, v5 :: v_dual_mov_b32 v5, v34
	v_mov_b32_e32 v33, v32
	v_cmpx_ngt_f32_e32 v32, v34
	s_cbranch_execz .LBB4_49
; %bb.46:
	s_mov_b32 s3, exec_lo
	v_cmpx_gt_f32_e32 v32, v4
; %bb.47:
	v_mov_b32_e32 v4, v32
; %bb.48:
	s_or_b32 exec_lo, exec_lo, s3
	s_delay_alu instid0(VALU_DEP_1)
	v_mov_b32_e32 v5, v4
	v_mov_b32_e32 v33, v34
.LBB4_49:
	s_or_b32 exec_lo, exec_lo, s2
	v_and_b32_e32 v4, 0xffff0000, v6
	s_mov_b32 s2, exec_lo
	s_delay_alu instid0(VALU_DEP_1) | instskip(SKIP_1) | instid1(VALU_DEP_2)
	v_add_f32_e32 v6, v22, v4
	v_mov_b32_e32 v4, v33
	v_mov_b32_e32 v34, v6
	v_cmpx_ngt_f32_e32 v6, v33
	s_cbranch_execz .LBB4_53
; %bb.50:
	s_mov_b32 s3, exec_lo
	v_cmpx_gt_f32_e32 v6, v5
; %bb.51:
	v_mov_b32_e32 v5, v6
; %bb.52:
	s_or_b32 exec_lo, exec_lo, s3
	s_delay_alu instid0(VALU_DEP_1)
	v_mov_b32_e32 v4, v5
	v_mov_b32_e32 v34, v33
.LBB4_53:
	s_or_b32 exec_lo, exec_lo, s2
	v_lshlrev_b32_e32 v5, 16, v7
	s_mov_b32 s2, exec_lo
	s_delay_alu instid0(VALU_DEP_1) | instskip(SKIP_1) | instid1(VALU_DEP_2)
	v_add_f32_e32 v33, v14, v5
	v_mov_b32_e32 v5, v34
	v_mov_b32_e32 v35, v33
	v_cmpx_ngt_f32_e32 v33, v34
	s_cbranch_execz .LBB4_57
; %bb.54:
	s_mov_b32 s3, exec_lo
	v_cmpx_gt_f32_e32 v33, v4
; %bb.55:
	v_mov_b32_e32 v4, v33
; %bb.56:
	s_or_b32 exec_lo, exec_lo, s3
	s_delay_alu instid0(VALU_DEP_1)
	v_mov_b32_e32 v5, v4
	v_mov_b32_e32 v35, v34
.LBB4_57:
	s_or_b32 exec_lo, exec_lo, s2
	v_and_b32_e32 v4, 0xffff0000, v7
	s_mov_b32 s2, exec_lo
	s_delay_alu instid0(VALU_DEP_1) | instskip(NEXT) | instid1(VALU_DEP_1)
	v_dual_add_f32 v7, v24, v4 :: v_dual_mov_b32 v4, v35
	v_mov_b32_e32 v36, v7
	v_cmpx_ngt_f32_e32 v7, v35
	s_cbranch_execz .LBB4_61
; %bb.58:
	s_mov_b32 s3, exec_lo
	v_cmpx_gt_f32_e32 v7, v5
; %bb.59:
	v_mov_b32_e32 v5, v7
; %bb.60:
	s_or_b32 exec_lo, exec_lo, s3
	s_delay_alu instid0(VALU_DEP_1)
	v_mov_b32_e32 v4, v5
	v_mov_b32_e32 v36, v35
.LBB4_61:
	s_or_b32 exec_lo, exec_lo, s2
	v_lshlrev_b32_e32 v5, 16, v0
	s_mov_b32 s2, exec_lo
	s_delay_alu instid0(VALU_DEP_1) | instskip(NEXT) | instid1(VALU_DEP_1)
	v_dual_add_f32 v34, v15, v5 :: v_dual_mov_b32 v5, v36
	v_mov_b32_e32 v37, v34
	v_cmpx_ngt_f32_e32 v34, v36
	s_cbranch_execz .LBB4_65
; %bb.62:
	s_mov_b32 s3, exec_lo
	v_cmpx_gt_f32_e32 v34, v4
; %bb.63:
	v_mov_b32_e32 v4, v34
; %bb.64:
	s_or_b32 exec_lo, exec_lo, s3
	s_delay_alu instid0(VALU_DEP_1)
	v_mov_b32_e32 v5, v4
	v_mov_b32_e32 v37, v36
.LBB4_65:
	s_or_b32 exec_lo, exec_lo, s2
	v_and_b32_e32 v0, 0xffff0000, v0
	s_mov_b32 s2, exec_lo
	s_delay_alu instid0(VALU_DEP_1) | instskip(SKIP_1) | instid1(VALU_DEP_2)
	v_add_f32_e32 v35, v25, v0
	v_mov_b32_e32 v0, v37
	v_mov_b32_e32 v38, v35
	v_cmpx_ngt_f32_e32 v35, v37
	s_cbranch_execz .LBB4_69
; %bb.66:
	s_mov_b32 s3, exec_lo
	v_cmpx_gt_f32_e32 v35, v5
; %bb.67:
	v_mov_b32_e32 v5, v35
; %bb.68:
	s_or_b32 exec_lo, exec_lo, s3
	s_delay_alu instid0(VALU_DEP_1)
	v_mov_b32_e32 v0, v5
	v_mov_b32_e32 v38, v37
.LBB4_69:
	s_or_b32 exec_lo, exec_lo, s2
	v_lshlrev_b32_e32 v4, 16, v1
	s_mov_b32 s2, exec_lo
	s_delay_alu instid0(VALU_DEP_1) | instskip(NEXT) | instid1(VALU_DEP_1)
	v_add_f32_e32 v36, v8, v4
	v_dual_mov_b32 v4, v38 :: v_dual_mov_b32 v5, v36
	v_cmpx_ngt_f32_e32 v36, v38
	s_cbranch_execz .LBB4_73
; %bb.70:
	s_mov_b32 s3, exec_lo
	v_cmpx_gt_f32_e32 v36, v0
; %bb.71:
	v_mov_b32_e32 v0, v36
; %bb.72:
	s_or_b32 exec_lo, exec_lo, s3
	s_delay_alu instid0(VALU_DEP_1)
	v_dual_mov_b32 v4, v0 :: v_dual_mov_b32 v5, v38
.LBB4_73:
	s_or_b32 exec_lo, exec_lo, s2
	v_and_b32_e32 v0, 0xffff0000, v1
	s_mov_b32 s2, exec_lo
	s_delay_alu instid0(VALU_DEP_1) | instskip(NEXT) | instid1(VALU_DEP_1)
	v_dual_add_f32 v37, v26, v0 :: v_dual_mov_b32 v0, v5
	v_mov_b32_e32 v39, v37
	v_cmpx_ngt_f32_e32 v37, v5
	s_cbranch_execz .LBB4_77
; %bb.74:
	s_mov_b32 s3, exec_lo
	v_cmpx_gt_f32_e32 v37, v4
; %bb.75:
	v_mov_b32_e32 v4, v37
; %bb.76:
	s_or_b32 exec_lo, exec_lo, s3
	s_delay_alu instid0(VALU_DEP_1)
	v_dual_mov_b32 v0, v4 :: v_dual_mov_b32 v39, v5
.LBB4_77:
	s_or_b32 exec_lo, exec_lo, s2
	v_lshlrev_b32_e32 v1, 16, v2
	s_mov_b32 s2, exec_lo
	s_delay_alu instid0(VALU_DEP_1) | instskip(NEXT) | instid1(VALU_DEP_1)
	v_dual_add_f32 v38, v9, v1 :: v_dual_mov_b32 v1, v39
	v_mov_b32_e32 v4, v38
	v_cmpx_ngt_f32_e32 v38, v39
	s_cbranch_execz .LBB4_81
; %bb.78:
	s_mov_b32 s3, exec_lo
	v_cmpx_gt_f32_e32 v38, v0
; %bb.79:
	v_mov_b32_e32 v0, v38
; %bb.80:
	s_or_b32 exec_lo, exec_lo, s3
	s_delay_alu instid0(VALU_DEP_1)
	v_dual_mov_b32 v1, v0 :: v_dual_mov_b32 v4, v39
.LBB4_81:
	s_or_b32 exec_lo, exec_lo, s2
	v_and_b32_e32 v0, 0xffff0000, v2
	s_mov_b32 s2, exec_lo
	s_delay_alu instid0(VALU_DEP_1) | instskip(NEXT) | instid1(VALU_DEP_1)
	v_dual_add_f32 v39, v27, v0 :: v_dual_mov_b32 v0, v4
	v_mov_b32_e32 v2, v39
	v_cmpx_ngt_f32_e32 v39, v4
	s_cbranch_execz .LBB4_85
; %bb.82:
	s_mov_b32 s3, exec_lo
	v_cmpx_gt_f32_e32 v39, v1
; %bb.83:
	v_mov_b32_e32 v1, v39
; %bb.84:
	s_or_b32 exec_lo, exec_lo, s3
	s_delay_alu instid0(VALU_DEP_1)
	v_mov_b32_e32 v0, v1
	v_mov_b32_e32 v2, v4
.LBB4_85:
	s_or_b32 exec_lo, exec_lo, s2
	v_lshlrev_b32_e32 v1, 16, v3
	s_mov_b32 s2, exec_lo
	s_delay_alu instid0(VALU_DEP_1) | instskip(NEXT) | instid1(VALU_DEP_1)
	v_add_f32_e32 v40, v10, v1
	v_dual_mov_b32 v1, v2 :: v_dual_mov_b32 v4, v40
	v_cmpx_ngt_f32_e32 v40, v2
	s_cbranch_execz .LBB4_89
; %bb.86:
	s_mov_b32 s3, exec_lo
	v_cmpx_gt_f32_e32 v40, v0
; %bb.87:
	v_mov_b32_e32 v0, v40
; %bb.88:
	s_or_b32 exec_lo, exec_lo, s3
	s_delay_alu instid0(VALU_DEP_1)
	v_dual_mov_b32 v1, v0 :: v_dual_mov_b32 v4, v2
.LBB4_89:
	s_or_b32 exec_lo, exec_lo, s2
	v_and_b32_e32 v0, 0xffff0000, v3
	s_mov_b32 s2, exec_lo
	s_delay_alu instid0(VALU_DEP_1) | instskip(NEXT) | instid1(VALU_DEP_1)
	v_dual_add_f32 v41, v11, v0 :: v_dual_mov_b32 v0, v4
	v_mov_b32_e32 v2, v41
	v_cmpx_ngt_f32_e32 v41, v4
	s_cbranch_execz .LBB4_93
; %bb.90:
	s_mov_b32 s3, exec_lo
	v_cmpx_gt_f32_e32 v41, v1
; %bb.91:
	v_mov_b32_e32 v1, v41
; %bb.92:
	s_or_b32 exec_lo, exec_lo, s3
	s_delay_alu instid0(VALU_DEP_1)
	v_mov_b32_e32 v0, v1
	v_mov_b32_e32 v2, v4
.LBB4_93:
	s_or_b32 exec_lo, exec_lo, s2
	v_cmp_lt_i64_e64 s2, s[26:27], 16
	v_lshlrev_b32_e32 v42, 4, v18
	s_delay_alu instid0(VALU_DEP_2)
	s_and_b32 vcc_lo, exec_lo, s2
	s_cbranch_vccz .LBB4_96
; %bb.94:
	v_add_f32_e32 v0, v0, v2
	s_sub_u32 s4, 16, s26
	s_subb_u32 s5, 0, s27
	s_mov_b64 s[6:7], 0
.LBB4_95:                               ; =>This Inner Loop Header: Depth=1
	s_delay_alu instid0(VALU_DEP_1) | instskip(SKIP_1) | instid1(VALU_DEP_2)
	v_mov_b32_dpp v1, v0 quad_perm:[1,0,3,2] row_mask:0xf bank_mask:0xf
	v_mov_b32_dpp v2, v42 quad_perm:[1,0,3,2] row_mask:0xf bank_mask:0xf
	v_cmp_eq_f32_e32 vcc_lo, v0, v1
	s_delay_alu instid0(VALU_DEP_2) | instskip(SKIP_1) | instid1(VALU_DEP_2)
	v_cmp_lt_i32_e64 s2, v42, v2
	v_cmp_lt_f32_e64 s3, v0, v1
	s_and_b32 s2, s2, vcc_lo
	s_delay_alu instid0(VALU_DEP_1) | instid1(SALU_CYCLE_1)
	s_or_b32 vcc_lo, s3, s2
	v_dual_cndmask_b32 v1, v1, v0 :: v_dual_cndmask_b32 v2, v2, v42
	s_delay_alu instid0(VALU_DEP_1) | instskip(NEXT) | instid1(VALU_DEP_2)
	v_mov_b32_dpp v3, v1 quad_perm:[2,3,0,1] row_mask:0xf bank_mask:0xf
	v_mov_b32_dpp v4, v2 quad_perm:[2,3,0,1] row_mask:0xf bank_mask:0xf
	s_delay_alu instid0(VALU_DEP_2) | instskip(NEXT) | instid1(VALU_DEP_2)
	v_cmp_eq_f32_e32 vcc_lo, v1, v3
	v_cmp_lt_i32_e64 s2, v2, v4
	s_delay_alu instid0(VALU_DEP_1) | instskip(SKIP_2) | instid1(VALU_DEP_2)
	s_and_b32 vcc_lo, vcc_lo, s2
	v_cmp_lt_f32_e64 s2, v1, v3
	v_cndmask_b32_e32 v5, v3, v1, vcc_lo
	s_or_b32 vcc_lo, s2, vcc_lo
	v_cndmask_b32_e32 v2, v4, v2, vcc_lo
	s_delay_alu instid0(VALU_DEP_2) | instskip(NEXT) | instid1(VALU_DEP_2)
	v_cndmask_b32_e64 v1, v5, v1, s2
	v_mov_b32_dpp v4, v2 row_half_mirror row_mask:0xf bank_mask:0xf
	s_delay_alu instid0(VALU_DEP_2) | instskip(NEXT) | instid1(VALU_DEP_2)
	v_mov_b32_dpp v3, v1 row_half_mirror row_mask:0xf bank_mask:0xf
	v_cmp_lt_i32_e64 s2, v2, v4
	s_delay_alu instid0(VALU_DEP_2) | instskip(NEXT) | instid1(VALU_DEP_2)
	v_cmp_eq_f32_e32 vcc_lo, v1, v3
	s_and_b32 vcc_lo, vcc_lo, s2
	v_cmp_lt_f32_e64 s2, v1, v3
	v_cndmask_b32_e32 v5, v3, v1, vcc_lo
	s_delay_alu instid0(VALU_DEP_2) | instskip(SKIP_2) | instid1(VALU_DEP_2)
	s_or_b32 vcc_lo, s2, vcc_lo
	s_add_u32 s6, s6, 1
	v_cndmask_b32_e32 v2, v4, v2, vcc_lo
	v_cndmask_b32_e64 v1, v5, v1, s2
	s_addc_u32 s7, s7, 0
	s_delay_alu instid0(SALU_CYCLE_1) | instskip(NEXT) | instid1(VALU_DEP_3)
	v_cmp_le_i64_e64 s2, s[4:5], s[6:7]
	v_mov_b32_dpp v3, v2 row_mirror row_mask:0xf bank_mask:0xf
	s_delay_alu instid0(VALU_DEP_3) | instskip(NEXT) | instid1(VALU_DEP_2)
	v_mov_b32_dpp v4, v1 row_mirror row_mask:0xf bank_mask:0xf
	v_min_i32_e32 v5, v2, v3
	s_delay_alu instid0(VALU_DEP_2) | instskip(NEXT) | instid1(VALU_DEP_2)
	v_cmp_eq_f32_e32 vcc_lo, v1, v4
	v_cndmask_b32_e32 v3, v3, v5, vcc_lo
	v_cmp_lt_f32_e32 vcc_lo, v1, v4
	s_delay_alu instid0(VALU_DEP_2) | instskip(NEXT) | instid1(VALU_DEP_1)
	v_cndmask_b32_e32 v1, v3, v2, vcc_lo
	v_ashrrev_i32_e32 v2, 31, v1
	s_delay_alu instid0(VALU_DEP_1) | instskip(NEXT) | instid1(VALU_DEP_1)
	v_lshrrev_b32_e32 v2, 28, v2
	v_add_nc_u32_e32 v1, v1, v2
	s_delay_alu instid0(VALU_DEP_1) | instskip(NEXT) | instid1(VALU_DEP_1)
	v_ashrrev_i32_e32 v1, 4, v1
	v_cmp_eq_u32_e32 vcc_lo, v18, v1
	v_cndmask_b32_e64 v28, v28, 0x7f7fffff, vcc_lo
	v_cndmask_b32_e64 v0, v0, 0x7f7fffff, vcc_lo
	s_and_b32 vcc_lo, exec_lo, s2
	s_cbranch_vccz .LBB4_95
.LBB4_96:
	s_sub_u32 s18, s28, s30
	s_subb_u32 s19, s29, s31
	s_mov_b64 s[2:3], src_shared_base
	s_cmp_lg_u32 0, -1
	v_lshlrev_b32_e32 v4, 2, v23
	s_cselect_b32 s2, s3, 0
	s_cselect_b32 s3, 0, 0
	s_load_b32 s26, s[0:1], 0x48
	s_add_u32 s4, s3, 0xff
	s_addc_u32 s3, s2, 0
	s_and_b32 s2, s4, 0xffffff00
	s_delay_alu instid0(SALU_CYCLE_1) | instskip(SKIP_1) | instid1(VALU_DEP_1)
	v_mad_u64_u32 v[0:1], null, v4, s28, s[2:3]
	v_cmp_lt_i64_e64 s2, s[18:19], 1
	s_and_b32 vcc_lo, exec_lo, s2
	s_delay_alu instid0(VALU_DEP_2) | instskip(SKIP_1) | instid1(VALU_DEP_2)
	v_mad_u64_u32 v[2:3], null, v4, s29, v[1:2]
	v_cmp_eq_u32_e64 s2, 0, v18
	v_mov_b32_e32 v1, v2
	s_cbranch_vccnz .LBB4_107
; %bb.97:
	s_waitcnt lgkmcnt(0)
	v_mad_u64_u32 v[2:3], null, s26, v16, 0
	s_ashr_i32 s3, s26, 31
	v_mul_u32_u24_e32 v43, 16, v18
	v_mov_b32_e32 v23, 0
	s_mov_b64 s[24:25], 0
	s_delay_alu instid0(VALU_DEP_3) | instskip(NEXT) | instid1(VALU_DEP_1)
	v_mad_u64_u32 v[4:5], null, s3, v16, v[3:4]
	v_mov_b32_e32 v3, v4
	v_dual_mov_b32 v5, v1 :: v_dual_mov_b32 v4, v0
	s_delay_alu instid0(VALU_DEP_2) | instskip(NEXT) | instid1(VALU_DEP_1)
	v_lshlrev_b64 v[2:3], 2, v[2:3]
	v_add_co_u32 v2, vcc_lo, s22, v2
	s_delay_alu instid0(VALU_DEP_2)
	v_add_co_ci_u32_e32 v3, vcc_lo, s23, v3, vcc_lo
	s_branch .LBB4_99
.LBB4_98:                               ;   in Loop: Header=BB4_99 Depth=1
	s_or_b32 exec_lo, exec_lo, s3
	s_add_u32 s24, s24, 1
	s_addc_u32 s25, s25, 0
	v_add_co_u32 v2, vcc_lo, v2, 4
	v_cmp_le_i64_e64 s3, s[18:19], s[24:25]
	v_add_co_ci_u32_e32 v3, vcc_lo, 0, v3, vcc_lo
	v_add_co_u32 v4, vcc_lo, v4, 4
	v_add_co_ci_u32_e32 v5, vcc_lo, 0, v5, vcc_lo
	s_delay_alu instid0(VALU_DEP_4)
	s_and_b32 vcc_lo, exec_lo, s3
	s_cbranch_vccnz .LBB4_108
.LBB4_99:                               ; =>This Inner Loop Header: Depth=1
	v_dual_mov_b32 v44, 0xff7fffff :: v_dual_mov_b32 v45, v42
	s_mov_b32 s3, exec_lo
	v_cmpx_neq_f32_e32 0x7f7fffff, v28
	s_cbranch_execz .LBB4_101
; %bb.100:                              ;   in Loop: Header=BB4_99 Depth=1
	v_cmp_gt_f32_e32 vcc_lo, v29, v28
	v_cndmask_b32_e32 v44, v28, v29, vcc_lo
	v_cndmask_b32_e64 v45, 0, 1, vcc_lo
	s_delay_alu instid0(VALU_DEP_2) | instskip(SKIP_1) | instid1(VALU_DEP_3)
	v_cmp_gt_f32_e32 vcc_lo, v30, v44
	v_cndmask_b32_e32 v44, v44, v30, vcc_lo
	v_cndmask_b32_e64 v45, v45, 2, vcc_lo
	s_delay_alu instid0(VALU_DEP_2) | instskip(SKIP_1) | instid1(VALU_DEP_3)
	;; [unrolled: 4-line block ×13, first 2 shown]
	v_cmp_gt_f32_e32 vcc_lo, v40, v44
	v_cndmask_b32_e32 v44, v44, v40, vcc_lo
	v_cndmask_b32_e64 v45, v45, 14, vcc_lo
	s_delay_alu instid0(VALU_DEP_2) | instskip(NEXT) | instid1(VALU_DEP_2)
	v_cmp_gt_f32_e32 vcc_lo, v41, v44
	v_cndmask_b32_e64 v45, v45, 15, vcc_lo
	v_cndmask_b32_e32 v44, v44, v41, vcc_lo
	s_delay_alu instid0(VALU_DEP_2)
	v_or_b32_e32 v45, v45, v42
.LBB4_101:                              ;   in Loop: Header=BB4_99 Depth=1
	s_or_b32 exec_lo, exec_lo, s3
	s_delay_alu instid0(VALU_DEP_2) | instskip(NEXT) | instid1(VALU_DEP_2)
	v_mov_b32_dpp v46, v44 quad_perm:[1,0,3,2] row_mask:0xf bank_mask:0xf
	v_mov_b32_dpp v47, v45 quad_perm:[1,0,3,2] row_mask:0xf bank_mask:0xf
	s_mov_b32 s27, exec_lo
	s_delay_alu instid0(VALU_DEP_2) | instskip(NEXT) | instid1(VALU_DEP_2)
	v_cmp_eq_f32_e32 vcc_lo, v44, v46
	v_cmp_lt_i32_e64 s3, v45, v47
	v_cmp_gt_f32_e64 s4, v44, v46
	s_delay_alu instid0(VALU_DEP_2)
	s_and_b32 s3, vcc_lo, s3
	s_delay_alu instid0(VALU_DEP_1) | instid1(SALU_CYCLE_1)
	s_or_b32 vcc_lo, s4, s3
	v_dual_cndmask_b32 v44, v46, v44 :: v_dual_cndmask_b32 v45, v47, v45
	s_delay_alu instid0(VALU_DEP_1) | instskip(NEXT) | instid1(VALU_DEP_2)
	v_mov_b32_dpp v46, v44 quad_perm:[2,3,0,1] row_mask:0xf bank_mask:0xf
	v_mov_b32_dpp v47, v45 quad_perm:[2,3,0,1] row_mask:0xf bank_mask:0xf
	s_delay_alu instid0(VALU_DEP_2) | instskip(NEXT) | instid1(VALU_DEP_2)
	v_cmp_eq_f32_e32 vcc_lo, v44, v46
	v_cmp_lt_i32_e64 s3, v45, v47
	s_delay_alu instid0(VALU_DEP_1) | instskip(SKIP_2) | instid1(VALU_DEP_2)
	s_and_b32 vcc_lo, vcc_lo, s3
	v_cmp_gt_f32_e64 s3, v44, v46
	v_cndmask_b32_e32 v48, v46, v44, vcc_lo
	s_or_b32 vcc_lo, s3, vcc_lo
	v_cndmask_b32_e32 v45, v47, v45, vcc_lo
	s_delay_alu instid0(VALU_DEP_2) | instskip(NEXT) | instid1(VALU_DEP_2)
	v_cndmask_b32_e64 v44, v48, v44, s3
	v_mov_b32_dpp v47, v45 row_half_mirror row_mask:0xf bank_mask:0xf
	s_delay_alu instid0(VALU_DEP_2) | instskip(NEXT) | instid1(VALU_DEP_2)
	v_mov_b32_dpp v46, v44 row_half_mirror row_mask:0xf bank_mask:0xf
	v_cmp_lt_i32_e64 s3, v45, v47
	s_delay_alu instid0(VALU_DEP_2) | instskip(NEXT) | instid1(VALU_DEP_2)
	v_cmp_eq_f32_e32 vcc_lo, v44, v46
	s_and_b32 vcc_lo, vcc_lo, s3
	v_cmp_gt_f32_e64 s3, v44, v46
	v_cndmask_b32_e32 v48, v46, v44, vcc_lo
	s_delay_alu instid0(VALU_DEP_2) | instskip(SKIP_1) | instid1(VALU_DEP_2)
	s_or_b32 vcc_lo, s3, vcc_lo
	v_cndmask_b32_e32 v45, v47, v45, vcc_lo
	v_cndmask_b32_e64 v44, v48, v44, s3
	s_delay_alu instid0(VALU_DEP_2) | instskip(NEXT) | instid1(VALU_DEP_2)
	v_mov_b32_dpp v46, v45 row_mirror row_mask:0xf bank_mask:0xf
	v_mov_b32_dpp v47, v44 row_mirror row_mask:0xf bank_mask:0xf
	s_delay_alu instid0(VALU_DEP_2) | instskip(NEXT) | instid1(VALU_DEP_2)
	v_min_i32_e32 v48, v45, v46
	v_cmp_eq_f32_e32 vcc_lo, v44, v47
	s_delay_alu instid0(VALU_DEP_2) | instskip(SKIP_1) | instid1(VALU_DEP_2)
	v_cndmask_b32_e32 v46, v46, v48, vcc_lo
	v_cmp_gt_f32_e32 vcc_lo, v44, v47
	v_cndmask_b32_e32 v44, v46, v45, vcc_lo
	s_delay_alu instid0(VALU_DEP_1) | instskip(NEXT) | instid1(VALU_DEP_1)
	v_ashrrev_i32_e32 v45, 31, v44
	v_lshrrev_b32_e32 v45, 28, v45
	s_delay_alu instid0(VALU_DEP_1) | instskip(NEXT) | instid1(VALU_DEP_1)
	v_add_nc_u32_e32 v45, v44, v45
	v_ashrrev_i32_e32 v45, 4, v45
	s_delay_alu instid0(VALU_DEP_1)
	v_cmpx_eq_u32_e64 v18, v45
	s_cbranch_execz .LBB4_105
; %bb.102:                              ;   in Loop: Header=BB4_99 Depth=1
	v_sub_nc_u32_e32 v45, v44, v43
	s_mov_b32 s33, exec_lo
	s_delay_alu instid0(VALU_DEP_1)
	v_cmp_eq_u32_e32 vcc_lo, 1, v45
	v_cmp_eq_u32_e64 s3, 2, v45
	v_cmp_eq_u32_e64 s4, 3, v45
	;; [unrolled: 1-line block ×14, first 2 shown]
	v_cmpx_gt_u32_e32 16, v45
	s_cbranch_execz .LBB4_104
; %bb.103:                              ;   in Loop: Header=BB4_99 Depth=1
	v_cndmask_b32_e32 v46, v19, v20, vcc_lo
	s_delay_alu instid0(VALU_DEP_1) | instskip(NEXT) | instid1(VALU_DEP_1)
	v_cndmask_b32_e64 v46, v46, v12, s3
	v_cndmask_b32_e64 v46, v46, v21, s4
	s_delay_alu instid0(VALU_DEP_1) | instskip(NEXT) | instid1(VALU_DEP_1)
	v_cndmask_b32_e64 v46, v46, v13, s5
	v_cndmask_b32_e64 v46, v46, v22, s6
	;; [unrolled: 3-line block ×7, first 2 shown]
	flat_store_b32 v[4:5], v46
.LBB4_104:                              ;   in Loop: Header=BB4_99 Depth=1
	s_or_b32 exec_lo, exec_lo, s33
	v_cmp_ne_u32_e64 s17, 0, v45
	v_cndmask_b32_e64 v29, v29, 0xff7fffff, vcc_lo
	v_cndmask_b32_e64 v30, v30, 0xff7fffff, s3
	v_cndmask_b32_e64 v31, v31, 0xff7fffff, s4
	;; [unrolled: 1-line block ×15, first 2 shown]
	global_store_b32 v[2:3], v44, off
.LBB4_105:                              ;   in Loop: Header=BB4_99 Depth=1
	s_or_b32 exec_lo, exec_lo, s27
	s_waitcnt lgkmcnt(0)
	s_waitcnt_vscnt null, 0x0
	s_barrier
	buffer_gl0_inv
	s_and_saveexec_b32 s3, s2
	s_cbranch_execz .LBB4_98
; %bb.106:                              ;   in Loop: Header=BB4_99 Depth=1
	flat_load_b32 v44, v[4:5]
	s_waitcnt vmcnt(0) lgkmcnt(0)
	v_add_f32_e32 v23, v23, v44
	s_branch .LBB4_98
.LBB4_107:
	v_mov_b32_e32 v23, 0
.LBB4_108:
	v_cmp_gt_i64_e64 s3, s[30:31], 0
	v_cmp_eq_u32_e64 s2, 0, v18
	s_delay_alu instid0(VALU_DEP_1) | instskip(NEXT) | instid1(SALU_CYCLE_1)
	s_and_b32 s4, s2, s3
	s_and_saveexec_b32 s3, s4
	s_cbranch_execz .LBB4_114
; %bb.109:
	v_dual_mov_b32 v2, v16 :: v_dual_mov_b32 v3, v17
	s_mov_b32 s4, exec_lo
	v_cmpx_le_u64_e64 s[30:31], v[16:17]
	s_cbranch_execz .LBB4_111
; %bb.110:
	v_cvt_f32_u32_e32 v2, s30
	s_sub_i32 s5, 0, s30
	s_delay_alu instid0(VALU_DEP_1) | instskip(SKIP_2) | instid1(VALU_DEP_1)
	v_rcp_iflag_f32_e32 v2, v2
	s_waitcnt_depctr 0xfff
	v_mul_f32_e32 v2, 0x4f7ffffe, v2
	v_cvt_u32_f32_e32 v2, v2
	s_delay_alu instid0(VALU_DEP_1) | instskip(NEXT) | instid1(VALU_DEP_1)
	v_mul_lo_u32 v3, s5, v2
	v_mul_hi_u32 v3, v2, v3
	s_delay_alu instid0(VALU_DEP_1) | instskip(NEXT) | instid1(VALU_DEP_1)
	v_add_nc_u32_e32 v2, v2, v3
	v_mul_hi_u32 v2, v16, v2
	s_delay_alu instid0(VALU_DEP_1) | instskip(NEXT) | instid1(VALU_DEP_1)
	v_mul_lo_u32 v2, v2, s30
	v_sub_nc_u32_e32 v2, v16, v2
	s_delay_alu instid0(VALU_DEP_1) | instskip(SKIP_1) | instid1(VALU_DEP_2)
	v_subrev_nc_u32_e32 v3, s30, v2
	v_cmp_le_u32_e32 vcc_lo, s30, v2
	v_cndmask_b32_e32 v2, v2, v3, vcc_lo
	s_delay_alu instid0(VALU_DEP_1) | instskip(SKIP_1) | instid1(VALU_DEP_2)
	v_subrev_nc_u32_e32 v3, s30, v2
	v_cmp_le_u32_e32 vcc_lo, s30, v2
	v_dual_cndmask_b32 v2, v2, v3 :: v_dual_mov_b32 v3, 0
.LBB4_111:
	s_or_b32 exec_lo, exec_lo, s4
	v_cvt_f64_f32_e32 v[4:5], v23
	s_load_b64 s[0:1], s[0:1], 0x40
	s_waitcnt lgkmcnt(0)
	s_delay_alu instid0(VALU_DEP_1) | instskip(SKIP_1) | instid1(VALU_DEP_2)
	v_div_scale_f64 v[6:7], null, s[0:1], s[0:1], v[4:5]
	v_div_scale_f64 v[12:13], vcc_lo, v[4:5], s[0:1], v[4:5]
	v_rcp_f64_e32 v[8:9], v[6:7]
	s_waitcnt_depctr 0xfff
	v_fma_f64 v[10:11], -v[6:7], v[8:9], 1.0
	s_delay_alu instid0(VALU_DEP_1) | instskip(NEXT) | instid1(VALU_DEP_1)
	v_fma_f64 v[8:9], v[8:9], v[10:11], v[8:9]
	v_fma_f64 v[10:11], -v[6:7], v[8:9], 1.0
	s_delay_alu instid0(VALU_DEP_1) | instskip(NEXT) | instid1(VALU_DEP_1)
	v_fma_f64 v[8:9], v[8:9], v[10:11], v[8:9]
	v_mul_f64 v[10:11], v[12:13], v[8:9]
	s_delay_alu instid0(VALU_DEP_1) | instskip(NEXT) | instid1(VALU_DEP_1)
	v_fma_f64 v[6:7], -v[6:7], v[10:11], v[12:13]
	v_div_fmas_f64 v[6:7], v[6:7], v[8:9], v[10:11]
	v_add_nc_u32_e32 v11, 0x100, v2
	s_delay_alu instid0(VALU_DEP_2) | instskip(SKIP_2) | instid1(VALU_DEP_2)
	v_div_fixup_f64 v[4:5], v[6:7], s[0:1], v[4:5]
	v_mad_u64_u32 v[6:7], null, s26, v16, s[18:19]
	s_ashr_i32 s0, s26, 31
	v_cvt_f32_f64_e32 v8, v[4:5]
	s_delay_alu instid0(VALU_DEP_2) | instskip(NEXT) | instid1(VALU_DEP_1)
	v_mov_b32_e32 v4, v7
	v_mad_u64_u32 v[9:10], null, s0, v16, v[4:5]
	v_cmp_lt_u64_e64 s0, s[30:31], 2
	s_delay_alu instid0(VALU_DEP_2) | instskip(NEXT) | instid1(VALU_DEP_1)
	v_mov_b32_e32 v7, v9
	v_lshlrev_b64 v[4:5], 2, v[6:7]
	s_delay_alu instid0(VALU_DEP_1) | instskip(NEXT) | instid1(VALU_DEP_2)
	v_add_co_u32 v6, vcc_lo, s22, v4
	v_add_co_ci_u32_e32 v7, vcc_lo, s23, v5, vcc_lo
	v_add_co_u32 v9, vcc_lo, s20, v4
	v_add_co_ci_u32_e32 v10, vcc_lo, s21, v5, vcc_lo
	s_and_b32 vcc_lo, exec_lo, s0
	global_store_b32 v[6:7], v11, off
	global_store_b32 v[9:10], v8, off
	s_cbranch_vccnz .LBB4_114
; %bb.112:
	v_add_co_u32 v6, vcc_lo, v4, 4
	v_add_co_ci_u32_e32 v7, vcc_lo, 0, v5, vcc_lo
	s_mov_b64 s[0:1], 1
	s_delay_alu instid0(VALU_DEP_2) | instskip(NEXT) | instid1(VALU_DEP_2)
	v_add_co_u32 v4, vcc_lo, s20, v6
	v_add_co_ci_u32_e32 v5, vcc_lo, s21, v7, vcc_lo
	v_add_co_u32 v6, vcc_lo, s22, v6
	v_add_co_ci_u32_e32 v7, vcc_lo, s23, v7, vcc_lo
	.p2align	6
.LBB4_113:                              ; =>This Inner Loop Header: Depth=1
	s_delay_alu instid0(VALU_DEP_2)
	v_add_co_u32 v9, vcc_lo, v2, 1
	v_add_co_ci_u32_e32 v10, vcc_lo, 0, v3, vcc_lo
	v_add_nc_u32_e32 v2, 0x101, v2
	s_add_u32 s0, s0, 1
	global_store_b32 v[4:5], v8, off
	v_add_co_u32 v4, vcc_lo, v4, 4
	s_addc_u32 s1, s1, 0
	v_add_co_ci_u32_e32 v5, vcc_lo, 0, v5, vcc_lo
	v_cmp_lt_u64_e64 s4, s[0:1], s[30:31]
	global_store_b32 v[6:7], v2, off
	v_add_co_u32 v6, vcc_lo, v6, 4
	v_dual_mov_b32 v2, v9 :: v_dual_mov_b32 v3, v10
	v_add_co_ci_u32_e32 v7, vcc_lo, 0, v7, vcc_lo
	s_and_b32 vcc_lo, exec_lo, s4
	s_cbranch_vccnz .LBB4_113
.LBB4_114:
	s_or_b32 exec_lo, exec_lo, s3
	v_cmp_gt_i64_e64 s3, s[28:29], 0
	s_mov_b64 s[0:1], 0
	s_waitcnt lgkmcnt(0)
	s_waitcnt_vscnt null, 0x0
	s_barrier
	buffer_gl0_inv
	s_and_b32 s2, s2, s3
	s_delay_alu instid0(SALU_CYCLE_1)
	s_and_b32 exec_lo, exec_lo, s2
	s_cbranch_execz .LBB4_121
; %bb.115:
	v_mad_u64_u32 v[2:3], null, s26, v16, 0
	s_ashr_i32 s2, s26, 31
	s_delay_alu instid0(VALU_DEP_1) | instid1(SALU_CYCLE_1)
	v_mad_u64_u32 v[4:5], null, s2, v16, v[3:4]
	v_cmp_lt_u64_e64 s2, s[28:29], 8
	s_delay_alu instid0(VALU_DEP_2) | instskip(NEXT) | instid1(VALU_DEP_1)
	v_mov_b32_e32 v3, v4
	v_lshlrev_b64 v[2:3], 2, v[2:3]
	s_delay_alu instid0(VALU_DEP_1) | instskip(NEXT) | instid1(VALU_DEP_2)
	v_add_co_u32 v2, vcc_lo, s20, v2
	v_add_co_ci_u32_e32 v3, vcc_lo, s21, v3, vcc_lo
	s_and_b32 vcc_lo, exec_lo, s2
	s_cbranch_vccnz .LBB4_118
; %bb.116:
	s_and_b32 s1, s29, 0x7fffffff
	s_and_b32 s0, s28, -8
	s_mov_b64 s[2:3], 0
	s_mov_b64 s[4:5], s[0:1]
.LBB4_117:                              ; =>This Inner Loop Header: Depth=1
	v_add_co_u32 v4, vcc_lo, v0, s2
	v_add_co_ci_u32_e32 v5, vcc_lo, s3, v1, vcc_lo
	flat_load_b32 v8, v[4:5]
	s_waitcnt vmcnt(0) lgkmcnt(0)
	v_div_scale_f32 v6, null, v23, v23, v8
	v_div_scale_f32 v10, vcc_lo, v8, v23, v8
	s_delay_alu instid0(VALU_DEP_2) | instskip(SKIP_2) | instid1(VALU_DEP_1)
	v_rcp_f32_e32 v7, v6
	s_waitcnt_depctr 0xfff
	v_fma_f32 v9, -v6, v7, 1.0
	v_fmac_f32_e32 v7, v9, v7
	s_delay_alu instid0(VALU_DEP_1) | instskip(NEXT) | instid1(VALU_DEP_1)
	v_mul_f32_e32 v9, v10, v7
	v_fma_f32 v11, -v6, v9, v10
	s_delay_alu instid0(VALU_DEP_1) | instskip(NEXT) | instid1(VALU_DEP_1)
	v_fmac_f32_e32 v9, v11, v7
	v_fma_f32 v6, -v6, v9, v10
	s_delay_alu instid0(VALU_DEP_1) | instskip(SKIP_2) | instid1(VALU_DEP_3)
	v_div_fmas_f32 v9, v6, v7, v9
	v_add_co_u32 v6, vcc_lo, v2, s2
	v_add_co_ci_u32_e32 v7, vcc_lo, s3, v3, vcc_lo
	v_div_fixup_f32 v8, v9, v23, v8
	s_add_u32 s2, s2, 32
	s_addc_u32 s3, s3, 0
	s_add_u32 s4, s4, -8
	s_addc_u32 s5, s5, -1
	global_store_b32 v[6:7], v8, off
	flat_load_b32 v8, v[4:5] offset:4
	s_cmp_lg_u64 s[4:5], 0
	s_waitcnt vmcnt(0) lgkmcnt(0)
	v_div_scale_f32 v9, null, v23, v23, v8
	v_div_scale_f32 v12, vcc_lo, v8, v23, v8
	s_delay_alu instid0(VALU_DEP_2) | instskip(SKIP_2) | instid1(VALU_DEP_1)
	v_rcp_f32_e32 v10, v9
	s_waitcnt_depctr 0xfff
	v_fma_f32 v11, -v9, v10, 1.0
	v_fmac_f32_e32 v10, v11, v10
	s_delay_alu instid0(VALU_DEP_1) | instskip(NEXT) | instid1(VALU_DEP_1)
	v_mul_f32_e32 v11, v12, v10
	v_fma_f32 v13, -v9, v11, v12
	s_delay_alu instid0(VALU_DEP_1) | instskip(NEXT) | instid1(VALU_DEP_1)
	v_fmac_f32_e32 v11, v13, v10
	v_fma_f32 v9, -v9, v11, v12
	s_delay_alu instid0(VALU_DEP_1) | instskip(NEXT) | instid1(VALU_DEP_1)
	v_div_fmas_f32 v9, v9, v10, v11
	v_div_fixup_f32 v8, v9, v23, v8
	global_store_b32 v[6:7], v8, off offset:4
	flat_load_b32 v8, v[4:5] offset:8
	s_waitcnt vmcnt(0) lgkmcnt(0)
	v_div_scale_f32 v9, null, v23, v23, v8
	v_div_scale_f32 v12, vcc_lo, v8, v23, v8
	s_delay_alu instid0(VALU_DEP_2) | instskip(SKIP_2) | instid1(VALU_DEP_1)
	v_rcp_f32_e32 v10, v9
	s_waitcnt_depctr 0xfff
	v_fma_f32 v11, -v9, v10, 1.0
	v_fmac_f32_e32 v10, v11, v10
	s_delay_alu instid0(VALU_DEP_1) | instskip(NEXT) | instid1(VALU_DEP_1)
	v_mul_f32_e32 v11, v12, v10
	v_fma_f32 v13, -v9, v11, v12
	s_delay_alu instid0(VALU_DEP_1) | instskip(NEXT) | instid1(VALU_DEP_1)
	v_fmac_f32_e32 v11, v13, v10
	v_fma_f32 v9, -v9, v11, v12
	s_delay_alu instid0(VALU_DEP_1) | instskip(NEXT) | instid1(VALU_DEP_1)
	v_div_fmas_f32 v9, v9, v10, v11
	v_div_fixup_f32 v8, v9, v23, v8
	global_store_b32 v[6:7], v8, off offset:8
	flat_load_b32 v8, v[4:5] offset:12
	;; [unrolled: 19-line block ×6, first 2 shown]
	s_waitcnt vmcnt(0) lgkmcnt(0)
	v_div_scale_f32 v5, null, v23, v23, v4
	v_div_scale_f32 v10, vcc_lo, v4, v23, v4
	s_delay_alu instid0(VALU_DEP_2) | instskip(SKIP_2) | instid1(VALU_DEP_1)
	v_rcp_f32_e32 v8, v5
	s_waitcnt_depctr 0xfff
	v_fma_f32 v9, -v5, v8, 1.0
	v_fmac_f32_e32 v8, v9, v8
	s_delay_alu instid0(VALU_DEP_1) | instskip(NEXT) | instid1(VALU_DEP_1)
	v_mul_f32_e32 v9, v10, v8
	v_fma_f32 v11, -v5, v9, v10
	s_delay_alu instid0(VALU_DEP_1) | instskip(NEXT) | instid1(VALU_DEP_1)
	v_fmac_f32_e32 v9, v11, v8
	v_fma_f32 v5, -v5, v9, v10
	s_delay_alu instid0(VALU_DEP_1) | instskip(NEXT) | instid1(VALU_DEP_1)
	v_div_fmas_f32 v5, v5, v8, v9
	v_div_fixup_f32 v4, v5, v23, v4
	global_store_b32 v[6:7], v4, off offset:28
	s_cbranch_scc1 .LBB4_117
.LBB4_118:
	s_and_b32 s2, s28, 7
	s_mov_b32 s3, 0
	s_delay_alu instid0(SALU_CYCLE_1)
	s_cmp_eq_u64 s[2:3], 0
	s_cbranch_scc1 .LBB4_121
; %bb.119:
	s_mov_b64 s[4:5], s[2:3]
	s_set_inst_prefetch_distance 0x1
	.p2align	6
.LBB4_120:                              ; =>This Inner Loop Header: Depth=1
	s_lshl_b64 s[6:7], s[0:1], 2
	s_add_i32 s2, s0, 1
	v_add_co_u32 v4, vcc_lo, v0, s6
	v_add_co_ci_u32_e32 v5, vcc_lo, s7, v1, vcc_lo
	s_add_u32 s4, s4, -1
	s_addc_u32 s5, s5, -1
	s_mov_b64 s[0:1], s[2:3]
	flat_load_b32 v6, v[4:5]
	s_cmp_lg_u64 s[4:5], 0
	s_waitcnt vmcnt(0) lgkmcnt(0)
	v_div_scale_f32 v4, null, v23, v23, v6
	v_div_scale_f32 v8, vcc_lo, v6, v23, v6
	s_delay_alu instid0(VALU_DEP_2) | instskip(SKIP_2) | instid1(VALU_DEP_1)
	v_rcp_f32_e32 v5, v4
	s_waitcnt_depctr 0xfff
	v_fma_f32 v7, -v4, v5, 1.0
	v_fmac_f32_e32 v5, v7, v5
	s_delay_alu instid0(VALU_DEP_1) | instskip(NEXT) | instid1(VALU_DEP_1)
	v_mul_f32_e32 v7, v8, v5
	v_fma_f32 v9, -v4, v7, v8
	s_delay_alu instid0(VALU_DEP_1) | instskip(NEXT) | instid1(VALU_DEP_1)
	v_fmac_f32_e32 v7, v9, v5
	v_fma_f32 v4, -v4, v7, v8
	s_delay_alu instid0(VALU_DEP_1) | instskip(SKIP_2) | instid1(VALU_DEP_3)
	v_div_fmas_f32 v7, v4, v5, v7
	v_add_co_u32 v4, vcc_lo, v2, s6
	v_add_co_ci_u32_e32 v5, vcc_lo, s7, v3, vcc_lo
	v_div_fixup_f32 v6, v7, v23, v6
	global_store_b32 v[4:5], v6, off
	s_cbranch_scc1 .LBB4_120
.LBB4_121:
	s_set_inst_prefetch_distance 0x2
	s_nop 0
	s_sendmsg sendmsg(MSG_DEALLOC_VGPRS)
	s_endpgm
	.section	.rodata,"a",@progbits
	.p2align	6, 0x0
	.amdhsa_kernel _Z21moe_fused_gate_kernelItLi16ELi256ELi16ELi1EEvPvS0_PfPilllldi
		.amdhsa_group_segment_fixed_size 0
		.amdhsa_private_segment_fixed_size 0
		.amdhsa_kernarg_size 76
		.amdhsa_user_sgpr_count 15
		.amdhsa_user_sgpr_dispatch_ptr 0
		.amdhsa_user_sgpr_queue_ptr 0
		.amdhsa_user_sgpr_kernarg_segment_ptr 1
		.amdhsa_user_sgpr_dispatch_id 0
		.amdhsa_user_sgpr_private_segment_size 0
		.amdhsa_wavefront_size32 1
		.amdhsa_uses_dynamic_stack 0
		.amdhsa_enable_private_segment 0
		.amdhsa_system_sgpr_workgroup_id_x 1
		.amdhsa_system_sgpr_workgroup_id_y 0
		.amdhsa_system_sgpr_workgroup_id_z 0
		.amdhsa_system_sgpr_workgroup_info 0
		.amdhsa_system_vgpr_workitem_id 1
		.amdhsa_next_free_vgpr 49
		.amdhsa_next_free_sgpr 34
		.amdhsa_reserve_vcc 1
		.amdhsa_float_round_mode_32 0
		.amdhsa_float_round_mode_16_64 0
		.amdhsa_float_denorm_mode_32 3
		.amdhsa_float_denorm_mode_16_64 3
		.amdhsa_dx10_clamp 1
		.amdhsa_ieee_mode 1
		.amdhsa_fp16_overflow 0
		.amdhsa_workgroup_processor_mode 1
		.amdhsa_memory_ordered 1
		.amdhsa_forward_progress 0
		.amdhsa_shared_vgpr_count 0
		.amdhsa_exception_fp_ieee_invalid_op 0
		.amdhsa_exception_fp_denorm_src 0
		.amdhsa_exception_fp_ieee_div_zero 0
		.amdhsa_exception_fp_ieee_overflow 0
		.amdhsa_exception_fp_ieee_underflow 0
		.amdhsa_exception_fp_ieee_inexact 0
		.amdhsa_exception_int_div_zero 0
	.end_amdhsa_kernel
	.section	.text._Z21moe_fused_gate_kernelItLi16ELi256ELi16ELi1EEvPvS0_PfPilllldi,"axG",@progbits,_Z21moe_fused_gate_kernelItLi16ELi256ELi16ELi1EEvPvS0_PfPilllldi,comdat
.Lfunc_end4:
	.size	_Z21moe_fused_gate_kernelItLi16ELi256ELi16ELi1EEvPvS0_PfPilllldi, .Lfunc_end4-_Z21moe_fused_gate_kernelItLi16ELi256ELi16ELi1EEvPvS0_PfPilllldi
                                        ; -- End function
	.section	.AMDGPU.csdata,"",@progbits
; Kernel info:
; codeLenInByte = 8600
; NumSgprs: 36
; NumVgprs: 49
; ScratchSize: 0
; MemoryBound: 0
; FloatMode: 240
; IeeeMode: 1
; LDSByteSize: 0 bytes/workgroup (compile time only)
; SGPRBlocks: 4
; VGPRBlocks: 6
; NumSGPRsForWavesPerEU: 36
; NumVGPRsForWavesPerEU: 49
; Occupancy: 16
; WaveLimiterHint : 0
; COMPUTE_PGM_RSRC2:SCRATCH_EN: 0
; COMPUTE_PGM_RSRC2:USER_SGPR: 15
; COMPUTE_PGM_RSRC2:TRAP_HANDLER: 0
; COMPUTE_PGM_RSRC2:TGID_X_EN: 1
; COMPUTE_PGM_RSRC2:TGID_Y_EN: 0
; COMPUTE_PGM_RSRC2:TGID_Z_EN: 0
; COMPUTE_PGM_RSRC2:TIDIG_COMP_CNT: 1
	.section	.text._Z21moe_fused_gate_kernelIDF16_Li16ELi256ELi16ELi1EEvPvS0_PfPilllldi,"axG",@progbits,_Z21moe_fused_gate_kernelIDF16_Li16ELi256ELi16ELi1EEvPvS0_PfPilllldi,comdat
	.protected	_Z21moe_fused_gate_kernelIDF16_Li16ELi256ELi16ELi1EEvPvS0_PfPilllldi ; -- Begin function _Z21moe_fused_gate_kernelIDF16_Li16ELi256ELi16ELi1EEvPvS0_PfPilllldi
	.globl	_Z21moe_fused_gate_kernelIDF16_Li16ELi256ELi16ELi1EEvPvS0_PfPilllldi
	.p2align	8
	.type	_Z21moe_fused_gate_kernelIDF16_Li16ELi256ELi16ELi1EEvPvS0_PfPilllldi,@function
_Z21moe_fused_gate_kernelIDF16_Li16ELi256ELi16ELi1EEvPvS0_PfPilllldi: ; @_Z21moe_fused_gate_kernelIDF16_Li16ELi256ELi16ELi1EEvPvS0_PfPilllldi
; %bb.0:
	s_load_b512 s[16:31], s[0:1], 0x0
	v_bfe_u32 v1, v0, 10, 10
	v_dual_mov_b32 v19, 0 :: v_dual_and_b32 v0, 0x3ff, v0
	s_mov_b32 s2, exec_lo
	s_delay_alu instid0(VALU_DEP_2) | instskip(NEXT) | instid1(VALU_DEP_2)
	v_add_nc_u32_e32 v1, s15, v1
	v_lshrrev_b32_e32 v23, 4, v0
	s_delay_alu instid0(VALU_DEP_3) | instskip(NEXT) | instid1(VALU_DEP_2)
	v_mov_b32_e32 v17, v19
	v_lshl_add_u32 v16, v1, 1, v23
	s_waitcnt lgkmcnt(0)
	s_delay_alu instid0(VALU_DEP_1)
	v_cmpx_gt_i64_e64 s[24:25], v[16:17]
	s_cbranch_execz .LBB5_121
; %bb.1:
	v_and_b32_e32 v18, 15, v0
	v_lshlrev_b64 v[0:1], 9, v[16:17]
	s_mov_b32 s2, exec_lo
	s_delay_alu instid0(VALU_DEP_2) | instskip(NEXT) | instid1(VALU_DEP_2)
	v_lshlrev_b32_e32 v4, 5, v18
	v_add_co_u32 v0, vcc_lo, s16, v0
	s_delay_alu instid0(VALU_DEP_3) | instskip(NEXT) | instid1(VALU_DEP_2)
	v_add_co_ci_u32_e32 v1, vcc_lo, s17, v1, vcc_lo
	v_add_co_u32 v0, vcc_lo, v0, v4
	s_delay_alu instid0(VALU_DEP_2)
	v_add_co_ci_u32_e32 v1, vcc_lo, 0, v1, vcc_lo
	s_clause 0x1
	global_load_b128 v[12:15], v[0:1], off
	global_load_b128 v[8:11], v[0:1], off offset:16
	s_clause 0x1
	global_load_b128 v[0:3], v4, s[18:19] offset:16
	global_load_b128 v[4:7], v4, s[18:19]
	s_waitcnt vmcnt(3)
	v_cmpx_o_f16_e32 v12, v12
	s_cbranch_execz .LBB5_3
; %bb.2:
	v_cvt_f32_f16_e64 v19, -v12
	s_mov_b32 s3, 0x3fb8aa3b
	s_delay_alu instid0(VALU_DEP_1) | instskip(SKIP_1) | instid1(VALU_DEP_2)
	v_mul_f32_e32 v20, 0x3fb8aa3b, v19
	v_cmp_ngt_f32_e32 vcc_lo, 0xc2ce8ed0, v19
	v_rndne_f32_e32 v21, v20
	v_fma_mix_f32 v22, -v12, s3, -v20 op_sel_hi:[1,0,0]
	s_mov_b32 s3, 0x32a5705f
	s_delay_alu instid0(VALU_DEP_2) | instskip(NEXT) | instid1(VALU_DEP_2)
	v_sub_f32_e32 v20, v20, v21
	v_fma_mix_f32 v22, -v12, s3, v22 op_sel_hi:[1,0,0]
	v_cvt_i32_f32_e32 v21, v21
	s_delay_alu instid0(VALU_DEP_2) | instskip(NEXT) | instid1(VALU_DEP_1)
	v_add_f32_e32 v20, v20, v22
	v_exp_f32_e32 v20, v20
	s_waitcnt_depctr 0xfff
	v_ldexp_f32 v20, v20, v21
	s_delay_alu instid0(VALU_DEP_1) | instskip(SKIP_1) | instid1(VALU_DEP_2)
	v_cndmask_b32_e32 v20, 0, v20, vcc_lo
	v_cmp_nlt_f32_e32 vcc_lo, 0x42b17218, v19
	v_cndmask_b32_e32 v19, 0x7f800000, v20, vcc_lo
	s_delay_alu instid0(VALU_DEP_1) | instskip(NEXT) | instid1(VALU_DEP_1)
	v_add_f32_e32 v19, 1.0, v19
	v_div_scale_f32 v20, null, v19, v19, 1.0
	s_delay_alu instid0(VALU_DEP_1) | instskip(SKIP_2) | instid1(VALU_DEP_1)
	v_rcp_f32_e32 v21, v20
	s_waitcnt_depctr 0xfff
	v_fma_f32 v22, -v20, v21, 1.0
	v_fmac_f32_e32 v21, v22, v21
	v_div_scale_f32 v22, vcc_lo, 1.0, v19, 1.0
	s_delay_alu instid0(VALU_DEP_1) | instskip(NEXT) | instid1(VALU_DEP_1)
	v_mul_f32_e32 v24, v22, v21
	v_fma_f32 v25, -v20, v24, v22
	s_delay_alu instid0(VALU_DEP_1) | instskip(NEXT) | instid1(VALU_DEP_1)
	v_fmac_f32_e32 v24, v25, v21
	v_fma_f32 v20, -v20, v24, v22
	s_delay_alu instid0(VALU_DEP_1) | instskip(NEXT) | instid1(VALU_DEP_1)
	v_div_fmas_f32 v20, v20, v21, v24
	v_div_fixup_f32 v19, v20, v19, 1.0
.LBB5_3:
	s_or_b32 exec_lo, exec_lo, s2
	v_lshrrev_b32_e32 v21, 16, v12
	v_mov_b32_e32 v12, 0
	v_mov_b32_e32 v20, 0
	s_mov_b32 s2, exec_lo
	s_delay_alu instid0(VALU_DEP_3)
	v_cmpx_o_f16_e32 v21, v21
	s_cbranch_execz .LBB5_5
; %bb.4:
	v_cvt_f32_f16_e64 v20, -v21
	s_mov_b32 s3, 0x3fb8aa3b
	s_delay_alu instid0(VALU_DEP_1) | instskip(SKIP_1) | instid1(VALU_DEP_1)
	v_cmp_ngt_f32_e32 vcc_lo, 0xc2ce8ed0, v20
	v_mul_f32_e32 v22, 0x3fb8aa3b, v20
	v_rndne_f32_e32 v24, v22
	v_fma_mix_f32 v25, -v21, s3, -v22 op_sel_hi:[1,0,0]
	s_mov_b32 s3, 0x32a5705f
	s_delay_alu instid0(VALU_DEP_2) | instskip(NEXT) | instid1(VALU_DEP_2)
	v_sub_f32_e32 v22, v22, v24
	v_fma_mix_f32 v21, -v21, s3, v25 op_sel_hi:[1,0,0]
	s_delay_alu instid0(VALU_DEP_1) | instskip(SKIP_1) | instid1(VALU_DEP_2)
	v_add_f32_e32 v21, v22, v21
	v_cvt_i32_f32_e32 v22, v24
	v_exp_f32_e32 v21, v21
	s_waitcnt_depctr 0xfff
	v_ldexp_f32 v21, v21, v22
	s_delay_alu instid0(VALU_DEP_1) | instskip(SKIP_1) | instid1(VALU_DEP_2)
	v_cndmask_b32_e32 v21, 0, v21, vcc_lo
	v_cmp_nlt_f32_e32 vcc_lo, 0x42b17218, v20
	v_cndmask_b32_e32 v20, 0x7f800000, v21, vcc_lo
	s_delay_alu instid0(VALU_DEP_1) | instskip(NEXT) | instid1(VALU_DEP_1)
	v_add_f32_e32 v20, 1.0, v20
	v_div_scale_f32 v21, null, v20, v20, 1.0
	s_delay_alu instid0(VALU_DEP_1) | instskip(SKIP_2) | instid1(VALU_DEP_1)
	v_rcp_f32_e32 v22, v21
	s_waitcnt_depctr 0xfff
	v_fma_f32 v24, -v21, v22, 1.0
	v_fmac_f32_e32 v22, v24, v22
	v_div_scale_f32 v24, vcc_lo, 1.0, v20, 1.0
	s_delay_alu instid0(VALU_DEP_1) | instskip(NEXT) | instid1(VALU_DEP_1)
	v_mul_f32_e32 v25, v24, v22
	v_fma_f32 v26, -v21, v25, v24
	s_delay_alu instid0(VALU_DEP_1) | instskip(NEXT) | instid1(VALU_DEP_1)
	v_fmac_f32_e32 v25, v26, v22
	v_fma_f32 v21, -v21, v25, v24
	s_delay_alu instid0(VALU_DEP_1) | instskip(NEXT) | instid1(VALU_DEP_1)
	v_div_fmas_f32 v21, v21, v22, v25
	v_div_fixup_f32 v20, v21, v20, 1.0
.LBB5_5:
	s_or_b32 exec_lo, exec_lo, s2
	s_delay_alu instid0(SALU_CYCLE_1)
	s_mov_b32 s2, exec_lo
	v_cmpx_o_f16_e32 v13, v13
	s_cbranch_execz .LBB5_7
; %bb.6:
	v_cvt_f32_f16_e64 v12, -v13
	s_mov_b32 s3, 0x3fb8aa3b
	s_delay_alu instid0(VALU_DEP_1) | instskip(SKIP_1) | instid1(VALU_DEP_2)
	v_mul_f32_e32 v21, 0x3fb8aa3b, v12
	v_cmp_ngt_f32_e32 vcc_lo, 0xc2ce8ed0, v12
	v_rndne_f32_e32 v22, v21
	v_fma_mix_f32 v24, -v13, s3, -v21 op_sel_hi:[1,0,0]
	s_mov_b32 s3, 0x32a5705f
	s_delay_alu instid0(VALU_DEP_2) | instskip(NEXT) | instid1(VALU_DEP_2)
	v_sub_f32_e32 v21, v21, v22
	v_fma_mix_f32 v24, -v13, s3, v24 op_sel_hi:[1,0,0]
	v_cvt_i32_f32_e32 v22, v22
	s_delay_alu instid0(VALU_DEP_2) | instskip(NEXT) | instid1(VALU_DEP_1)
	v_add_f32_e32 v21, v21, v24
	v_exp_f32_e32 v21, v21
	s_waitcnt_depctr 0xfff
	v_ldexp_f32 v21, v21, v22
	s_delay_alu instid0(VALU_DEP_1) | instskip(SKIP_1) | instid1(VALU_DEP_2)
	v_cndmask_b32_e32 v21, 0, v21, vcc_lo
	v_cmp_nlt_f32_e32 vcc_lo, 0x42b17218, v12
	v_cndmask_b32_e32 v12, 0x7f800000, v21, vcc_lo
	s_delay_alu instid0(VALU_DEP_1) | instskip(NEXT) | instid1(VALU_DEP_1)
	v_add_f32_e32 v12, 1.0, v12
	v_div_scale_f32 v21, null, v12, v12, 1.0
	s_delay_alu instid0(VALU_DEP_1) | instskip(SKIP_2) | instid1(VALU_DEP_1)
	v_rcp_f32_e32 v22, v21
	s_waitcnt_depctr 0xfff
	v_fma_f32 v24, -v21, v22, 1.0
	v_fmac_f32_e32 v22, v24, v22
	v_div_scale_f32 v24, vcc_lo, 1.0, v12, 1.0
	s_delay_alu instid0(VALU_DEP_1) | instskip(NEXT) | instid1(VALU_DEP_1)
	v_mul_f32_e32 v25, v24, v22
	v_fma_f32 v26, -v21, v25, v24
	s_delay_alu instid0(VALU_DEP_1) | instskip(NEXT) | instid1(VALU_DEP_1)
	v_fmac_f32_e32 v25, v26, v22
	v_fma_f32 v21, -v21, v25, v24
	s_delay_alu instid0(VALU_DEP_1) | instskip(NEXT) | instid1(VALU_DEP_1)
	v_div_fmas_f32 v21, v21, v22, v25
	v_div_fixup_f32 v12, v21, v12, 1.0
.LBB5_7:
	s_or_b32 exec_lo, exec_lo, s2
	v_lshrrev_b32_e32 v22, 16, v13
	v_mov_b32_e32 v13, 0
	v_mov_b32_e32 v21, 0
	s_mov_b32 s2, exec_lo
	s_delay_alu instid0(VALU_DEP_3)
	v_cmpx_o_f16_e32 v22, v22
	s_cbranch_execz .LBB5_9
; %bb.8:
	v_cvt_f32_f16_e64 v21, -v22
	s_mov_b32 s3, 0x3fb8aa3b
	s_delay_alu instid0(VALU_DEP_1) | instskip(SKIP_1) | instid1(VALU_DEP_2)
	v_mul_f32_e32 v24, 0x3fb8aa3b, v21
	v_cmp_ngt_f32_e32 vcc_lo, 0xc2ce8ed0, v21
	v_rndne_f32_e32 v25, v24
	v_fma_mix_f32 v26, -v22, s3, -v24 op_sel_hi:[1,0,0]
	s_mov_b32 s3, 0x32a5705f
	s_delay_alu instid0(VALU_DEP_2) | instskip(NEXT) | instid1(VALU_DEP_2)
	v_sub_f32_e32 v24, v24, v25
	v_fma_mix_f32 v22, -v22, s3, v26 op_sel_hi:[1,0,0]
	s_delay_alu instid0(VALU_DEP_1) | instskip(SKIP_1) | instid1(VALU_DEP_2)
	v_add_f32_e32 v22, v24, v22
	v_cvt_i32_f32_e32 v24, v25
	v_exp_f32_e32 v22, v22
	s_waitcnt_depctr 0xfff
	v_ldexp_f32 v22, v22, v24
	s_delay_alu instid0(VALU_DEP_1) | instskip(SKIP_1) | instid1(VALU_DEP_2)
	v_cndmask_b32_e32 v22, 0, v22, vcc_lo
	v_cmp_nlt_f32_e32 vcc_lo, 0x42b17218, v21
	v_cndmask_b32_e32 v21, 0x7f800000, v22, vcc_lo
	s_delay_alu instid0(VALU_DEP_1) | instskip(NEXT) | instid1(VALU_DEP_1)
	v_add_f32_e32 v21, 1.0, v21
	v_div_scale_f32 v22, null, v21, v21, 1.0
	s_delay_alu instid0(VALU_DEP_1) | instskip(SKIP_2) | instid1(VALU_DEP_1)
	v_rcp_f32_e32 v24, v22
	s_waitcnt_depctr 0xfff
	v_fma_f32 v25, -v22, v24, 1.0
	v_fmac_f32_e32 v24, v25, v24
	v_div_scale_f32 v25, vcc_lo, 1.0, v21, 1.0
	s_delay_alu instid0(VALU_DEP_1) | instskip(NEXT) | instid1(VALU_DEP_1)
	v_mul_f32_e32 v26, v25, v24
	v_fma_f32 v27, -v22, v26, v25
	s_delay_alu instid0(VALU_DEP_1) | instskip(NEXT) | instid1(VALU_DEP_1)
	v_fmac_f32_e32 v26, v27, v24
	v_fma_f32 v22, -v22, v26, v25
	s_delay_alu instid0(VALU_DEP_1) | instskip(NEXT) | instid1(VALU_DEP_1)
	v_div_fmas_f32 v22, v22, v24, v26
	v_div_fixup_f32 v21, v22, v21, 1.0
.LBB5_9:
	s_or_b32 exec_lo, exec_lo, s2
	s_delay_alu instid0(SALU_CYCLE_1)
	s_mov_b32 s2, exec_lo
	v_cmpx_o_f16_e32 v14, v14
	s_cbranch_execz .LBB5_11
; %bb.10:
	v_cvt_f32_f16_e64 v13, -v14
	s_mov_b32 s3, 0x3fb8aa3b
	s_delay_alu instid0(VALU_DEP_1) | instskip(SKIP_1) | instid1(VALU_DEP_2)
	v_mul_f32_e32 v22, 0x3fb8aa3b, v13
	v_cmp_ngt_f32_e32 vcc_lo, 0xc2ce8ed0, v13
	v_rndne_f32_e32 v24, v22
	v_fma_mix_f32 v25, -v14, s3, -v22 op_sel_hi:[1,0,0]
	s_mov_b32 s3, 0x32a5705f
	s_delay_alu instid0(VALU_DEP_2) | instskip(NEXT) | instid1(VALU_DEP_2)
	v_sub_f32_e32 v22, v22, v24
	v_fma_mix_f32 v25, -v14, s3, v25 op_sel_hi:[1,0,0]
	v_cvt_i32_f32_e32 v24, v24
	s_delay_alu instid0(VALU_DEP_2) | instskip(NEXT) | instid1(VALU_DEP_1)
	v_add_f32_e32 v22, v22, v25
	v_exp_f32_e32 v22, v22
	s_waitcnt_depctr 0xfff
	v_ldexp_f32 v22, v22, v24
	s_delay_alu instid0(VALU_DEP_1) | instskip(SKIP_1) | instid1(VALU_DEP_2)
	v_cndmask_b32_e32 v22, 0, v22, vcc_lo
	v_cmp_nlt_f32_e32 vcc_lo, 0x42b17218, v13
	v_cndmask_b32_e32 v13, 0x7f800000, v22, vcc_lo
	s_delay_alu instid0(VALU_DEP_1) | instskip(NEXT) | instid1(VALU_DEP_1)
	v_add_f32_e32 v13, 1.0, v13
	v_div_scale_f32 v22, null, v13, v13, 1.0
	s_delay_alu instid0(VALU_DEP_1) | instskip(SKIP_2) | instid1(VALU_DEP_1)
	v_rcp_f32_e32 v24, v22
	s_waitcnt_depctr 0xfff
	v_fma_f32 v25, -v22, v24, 1.0
	v_fmac_f32_e32 v24, v25, v24
	v_div_scale_f32 v25, vcc_lo, 1.0, v13, 1.0
	s_delay_alu instid0(VALU_DEP_1) | instskip(NEXT) | instid1(VALU_DEP_1)
	v_mul_f32_e32 v26, v25, v24
	v_fma_f32 v27, -v22, v26, v25
	s_delay_alu instid0(VALU_DEP_1) | instskip(NEXT) | instid1(VALU_DEP_1)
	v_fmac_f32_e32 v26, v27, v24
	v_fma_f32 v22, -v22, v26, v25
	s_delay_alu instid0(VALU_DEP_1) | instskip(NEXT) | instid1(VALU_DEP_1)
	v_div_fmas_f32 v22, v22, v24, v26
	v_div_fixup_f32 v13, v22, v13, 1.0
.LBB5_11:
	s_or_b32 exec_lo, exec_lo, s2
	v_lshrrev_b32_e32 v24, 16, v14
	v_mov_b32_e32 v14, 0
	v_mov_b32_e32 v22, 0
	s_mov_b32 s2, exec_lo
	s_delay_alu instid0(VALU_DEP_3)
	v_cmpx_o_f16_e32 v24, v24
	s_cbranch_execz .LBB5_13
; %bb.12:
	v_cvt_f32_f16_e64 v22, -v24
	s_mov_b32 s3, 0x3fb8aa3b
	s_delay_alu instid0(VALU_DEP_1) | instskip(SKIP_1) | instid1(VALU_DEP_1)
	v_cmp_ngt_f32_e32 vcc_lo, 0xc2ce8ed0, v22
	v_mul_f32_e32 v25, 0x3fb8aa3b, v22
	v_rndne_f32_e32 v26, v25
	v_fma_mix_f32 v27, -v24, s3, -v25 op_sel_hi:[1,0,0]
	s_mov_b32 s3, 0x32a5705f
	s_delay_alu instid0(VALU_DEP_2) | instskip(NEXT) | instid1(VALU_DEP_2)
	v_sub_f32_e32 v25, v25, v26
	v_fma_mix_f32 v24, -v24, s3, v27 op_sel_hi:[1,0,0]
	s_delay_alu instid0(VALU_DEP_1) | instskip(SKIP_1) | instid1(VALU_DEP_2)
	v_add_f32_e32 v24, v25, v24
	v_cvt_i32_f32_e32 v25, v26
	v_exp_f32_e32 v24, v24
	s_waitcnt_depctr 0xfff
	v_ldexp_f32 v24, v24, v25
	s_delay_alu instid0(VALU_DEP_1) | instskip(SKIP_1) | instid1(VALU_DEP_2)
	v_cndmask_b32_e32 v24, 0, v24, vcc_lo
	v_cmp_nlt_f32_e32 vcc_lo, 0x42b17218, v22
	v_cndmask_b32_e32 v22, 0x7f800000, v24, vcc_lo
	s_delay_alu instid0(VALU_DEP_1) | instskip(NEXT) | instid1(VALU_DEP_1)
	v_add_f32_e32 v22, 1.0, v22
	v_div_scale_f32 v24, null, v22, v22, 1.0
	s_delay_alu instid0(VALU_DEP_1) | instskip(SKIP_2) | instid1(VALU_DEP_1)
	v_rcp_f32_e32 v25, v24
	s_waitcnt_depctr 0xfff
	v_fma_f32 v26, -v24, v25, 1.0
	v_fmac_f32_e32 v25, v26, v25
	v_div_scale_f32 v26, vcc_lo, 1.0, v22, 1.0
	s_delay_alu instid0(VALU_DEP_1) | instskip(NEXT) | instid1(VALU_DEP_1)
	v_mul_f32_e32 v27, v26, v25
	v_fma_f32 v28, -v24, v27, v26
	s_delay_alu instid0(VALU_DEP_1) | instskip(NEXT) | instid1(VALU_DEP_1)
	v_fmac_f32_e32 v27, v28, v25
	v_fma_f32 v24, -v24, v27, v26
	s_delay_alu instid0(VALU_DEP_1) | instskip(NEXT) | instid1(VALU_DEP_1)
	v_div_fmas_f32 v24, v24, v25, v27
	v_div_fixup_f32 v22, v24, v22, 1.0
.LBB5_13:
	s_or_b32 exec_lo, exec_lo, s2
	s_delay_alu instid0(SALU_CYCLE_1)
	s_mov_b32 s2, exec_lo
	v_cmpx_o_f16_e32 v15, v15
	s_cbranch_execz .LBB5_15
; %bb.14:
	v_cvt_f32_f16_e64 v14, -v15
	s_mov_b32 s3, 0x3fb8aa3b
	s_delay_alu instid0(VALU_DEP_1) | instskip(SKIP_1) | instid1(VALU_DEP_2)
	v_mul_f32_e32 v24, 0x3fb8aa3b, v14
	v_cmp_ngt_f32_e32 vcc_lo, 0xc2ce8ed0, v14
	v_rndne_f32_e32 v25, v24
	v_fma_mix_f32 v26, -v15, s3, -v24 op_sel_hi:[1,0,0]
	s_mov_b32 s3, 0x32a5705f
	s_delay_alu instid0(VALU_DEP_2) | instskip(NEXT) | instid1(VALU_DEP_2)
	v_sub_f32_e32 v24, v24, v25
	v_fma_mix_f32 v26, -v15, s3, v26 op_sel_hi:[1,0,0]
	v_cvt_i32_f32_e32 v25, v25
	s_delay_alu instid0(VALU_DEP_2) | instskip(NEXT) | instid1(VALU_DEP_1)
	v_add_f32_e32 v24, v24, v26
	v_exp_f32_e32 v24, v24
	s_waitcnt_depctr 0xfff
	v_ldexp_f32 v24, v24, v25
	s_delay_alu instid0(VALU_DEP_1) | instskip(SKIP_1) | instid1(VALU_DEP_2)
	v_cndmask_b32_e32 v24, 0, v24, vcc_lo
	v_cmp_nlt_f32_e32 vcc_lo, 0x42b17218, v14
	v_cndmask_b32_e32 v14, 0x7f800000, v24, vcc_lo
	s_delay_alu instid0(VALU_DEP_1) | instskip(NEXT) | instid1(VALU_DEP_1)
	v_add_f32_e32 v14, 1.0, v14
	v_div_scale_f32 v24, null, v14, v14, 1.0
	s_delay_alu instid0(VALU_DEP_1) | instskip(SKIP_2) | instid1(VALU_DEP_1)
	v_rcp_f32_e32 v25, v24
	s_waitcnt_depctr 0xfff
	v_fma_f32 v26, -v24, v25, 1.0
	v_fmac_f32_e32 v25, v26, v25
	v_div_scale_f32 v26, vcc_lo, 1.0, v14, 1.0
	s_delay_alu instid0(VALU_DEP_1) | instskip(NEXT) | instid1(VALU_DEP_1)
	v_mul_f32_e32 v27, v26, v25
	v_fma_f32 v28, -v24, v27, v26
	s_delay_alu instid0(VALU_DEP_1) | instskip(NEXT) | instid1(VALU_DEP_1)
	v_fmac_f32_e32 v27, v28, v25
	v_fma_f32 v24, -v24, v27, v26
	s_delay_alu instid0(VALU_DEP_1) | instskip(NEXT) | instid1(VALU_DEP_1)
	v_div_fmas_f32 v24, v24, v25, v27
	v_div_fixup_f32 v14, v24, v14, 1.0
.LBB5_15:
	s_or_b32 exec_lo, exec_lo, s2
	v_lshrrev_b32_e32 v25, 16, v15
	v_dual_mov_b32 v15, 0 :: v_dual_mov_b32 v24, 0
	s_mov_b32 s2, exec_lo
	s_delay_alu instid0(VALU_DEP_2)
	v_cmpx_o_f16_e32 v25, v25
	s_cbranch_execz .LBB5_17
; %bb.16:
	v_cvt_f32_f16_e64 v24, -v25
	s_mov_b32 s3, 0x3fb8aa3b
	s_delay_alu instid0(VALU_DEP_1) | instskip(SKIP_1) | instid1(VALU_DEP_1)
	v_cmp_ngt_f32_e32 vcc_lo, 0xc2ce8ed0, v24
	v_mul_f32_e32 v26, 0x3fb8aa3b, v24
	v_rndne_f32_e32 v27, v26
	v_fma_mix_f32 v28, -v25, s3, -v26 op_sel_hi:[1,0,0]
	s_mov_b32 s3, 0x32a5705f
	s_delay_alu instid0(VALU_DEP_2) | instskip(NEXT) | instid1(VALU_DEP_2)
	v_sub_f32_e32 v26, v26, v27
	v_fma_mix_f32 v25, -v25, s3, v28 op_sel_hi:[1,0,0]
	s_delay_alu instid0(VALU_DEP_1) | instskip(SKIP_1) | instid1(VALU_DEP_2)
	v_add_f32_e32 v25, v26, v25
	v_cvt_i32_f32_e32 v26, v27
	v_exp_f32_e32 v25, v25
	s_waitcnt_depctr 0xfff
	v_ldexp_f32 v25, v25, v26
	s_delay_alu instid0(VALU_DEP_1) | instskip(SKIP_1) | instid1(VALU_DEP_2)
	v_cndmask_b32_e32 v25, 0, v25, vcc_lo
	v_cmp_nlt_f32_e32 vcc_lo, 0x42b17218, v24
	v_cndmask_b32_e32 v24, 0x7f800000, v25, vcc_lo
	s_delay_alu instid0(VALU_DEP_1) | instskip(NEXT) | instid1(VALU_DEP_1)
	v_add_f32_e32 v24, 1.0, v24
	v_div_scale_f32 v25, null, v24, v24, 1.0
	s_delay_alu instid0(VALU_DEP_1) | instskip(SKIP_2) | instid1(VALU_DEP_1)
	v_rcp_f32_e32 v26, v25
	s_waitcnt_depctr 0xfff
	v_fma_f32 v27, -v25, v26, 1.0
	v_fmac_f32_e32 v26, v27, v26
	v_div_scale_f32 v27, vcc_lo, 1.0, v24, 1.0
	s_delay_alu instid0(VALU_DEP_1) | instskip(NEXT) | instid1(VALU_DEP_1)
	v_mul_f32_e32 v28, v27, v26
	v_fma_f32 v29, -v25, v28, v27
	s_delay_alu instid0(VALU_DEP_1) | instskip(NEXT) | instid1(VALU_DEP_1)
	v_fmac_f32_e32 v28, v29, v26
	v_fma_f32 v25, -v25, v28, v27
	s_delay_alu instid0(VALU_DEP_1) | instskip(NEXT) | instid1(VALU_DEP_1)
	v_div_fmas_f32 v25, v25, v26, v28
	v_div_fixup_f32 v24, v25, v24, 1.0
.LBB5_17:
	s_or_b32 exec_lo, exec_lo, s2
	s_delay_alu instid0(SALU_CYCLE_1)
	s_mov_b32 s2, exec_lo
	s_waitcnt vmcnt(2)
	v_cmpx_o_f16_e32 v8, v8
	s_cbranch_execz .LBB5_19
; %bb.18:
	v_cvt_f32_f16_e64 v15, -v8
	s_mov_b32 s3, 0x3fb8aa3b
	s_delay_alu instid0(VALU_DEP_1) | instskip(SKIP_1) | instid1(VALU_DEP_2)
	v_mul_f32_e32 v25, 0x3fb8aa3b, v15
	v_cmp_ngt_f32_e32 vcc_lo, 0xc2ce8ed0, v15
	v_rndne_f32_e32 v26, v25
	v_fma_mix_f32 v27, -v8, s3, -v25 op_sel_hi:[1,0,0]
	s_mov_b32 s3, 0x32a5705f
	s_delay_alu instid0(VALU_DEP_2) | instskip(NEXT) | instid1(VALU_DEP_2)
	v_sub_f32_e32 v25, v25, v26
	v_fma_mix_f32 v27, -v8, s3, v27 op_sel_hi:[1,0,0]
	v_cvt_i32_f32_e32 v26, v26
	s_delay_alu instid0(VALU_DEP_2) | instskip(NEXT) | instid1(VALU_DEP_1)
	v_add_f32_e32 v25, v25, v27
	v_exp_f32_e32 v25, v25
	s_waitcnt_depctr 0xfff
	v_ldexp_f32 v25, v25, v26
	s_delay_alu instid0(VALU_DEP_1) | instskip(SKIP_1) | instid1(VALU_DEP_2)
	v_cndmask_b32_e32 v25, 0, v25, vcc_lo
	v_cmp_nlt_f32_e32 vcc_lo, 0x42b17218, v15
	v_cndmask_b32_e32 v15, 0x7f800000, v25, vcc_lo
	s_delay_alu instid0(VALU_DEP_1) | instskip(NEXT) | instid1(VALU_DEP_1)
	v_add_f32_e32 v15, 1.0, v15
	v_div_scale_f32 v25, null, v15, v15, 1.0
	s_delay_alu instid0(VALU_DEP_1) | instskip(SKIP_2) | instid1(VALU_DEP_1)
	v_rcp_f32_e32 v26, v25
	s_waitcnt_depctr 0xfff
	v_fma_f32 v27, -v25, v26, 1.0
	v_fmac_f32_e32 v26, v27, v26
	v_div_scale_f32 v27, vcc_lo, 1.0, v15, 1.0
	s_delay_alu instid0(VALU_DEP_1) | instskip(NEXT) | instid1(VALU_DEP_1)
	v_mul_f32_e32 v28, v27, v26
	v_fma_f32 v29, -v25, v28, v27
	s_delay_alu instid0(VALU_DEP_1) | instskip(NEXT) | instid1(VALU_DEP_1)
	v_fmac_f32_e32 v28, v29, v26
	v_fma_f32 v25, -v25, v28, v27
	s_delay_alu instid0(VALU_DEP_1) | instskip(NEXT) | instid1(VALU_DEP_1)
	v_div_fmas_f32 v25, v25, v26, v28
	v_div_fixup_f32 v15, v25, v15, 1.0
.LBB5_19:
	s_or_b32 exec_lo, exec_lo, s2
	v_lshrrev_b32_e32 v26, 16, v8
	v_dual_mov_b32 v8, 0 :: v_dual_mov_b32 v25, 0
	s_mov_b32 s2, exec_lo
	s_delay_alu instid0(VALU_DEP_2)
	v_cmpx_o_f16_e32 v26, v26
	s_cbranch_execz .LBB5_21
; %bb.20:
	v_cvt_f32_f16_e64 v25, -v26
	s_mov_b32 s3, 0x3fb8aa3b
	s_delay_alu instid0(VALU_DEP_1) | instskip(SKIP_1) | instid1(VALU_DEP_1)
	v_cmp_ngt_f32_e32 vcc_lo, 0xc2ce8ed0, v25
	v_mul_f32_e32 v27, 0x3fb8aa3b, v25
	v_rndne_f32_e32 v28, v27
	v_fma_mix_f32 v29, -v26, s3, -v27 op_sel_hi:[1,0,0]
	s_mov_b32 s3, 0x32a5705f
	s_delay_alu instid0(VALU_DEP_2) | instskip(NEXT) | instid1(VALU_DEP_2)
	v_sub_f32_e32 v27, v27, v28
	v_fma_mix_f32 v26, -v26, s3, v29 op_sel_hi:[1,0,0]
	s_delay_alu instid0(VALU_DEP_1) | instskip(SKIP_1) | instid1(VALU_DEP_2)
	v_add_f32_e32 v26, v27, v26
	v_cvt_i32_f32_e32 v27, v28
	v_exp_f32_e32 v26, v26
	s_waitcnt_depctr 0xfff
	v_ldexp_f32 v26, v26, v27
	s_delay_alu instid0(VALU_DEP_1) | instskip(SKIP_1) | instid1(VALU_DEP_2)
	v_cndmask_b32_e32 v26, 0, v26, vcc_lo
	v_cmp_nlt_f32_e32 vcc_lo, 0x42b17218, v25
	v_cndmask_b32_e32 v25, 0x7f800000, v26, vcc_lo
	s_delay_alu instid0(VALU_DEP_1) | instskip(NEXT) | instid1(VALU_DEP_1)
	v_add_f32_e32 v25, 1.0, v25
	v_div_scale_f32 v26, null, v25, v25, 1.0
	s_delay_alu instid0(VALU_DEP_1) | instskip(SKIP_2) | instid1(VALU_DEP_1)
	v_rcp_f32_e32 v27, v26
	s_waitcnt_depctr 0xfff
	v_fma_f32 v28, -v26, v27, 1.0
	v_fmac_f32_e32 v27, v28, v27
	v_div_scale_f32 v28, vcc_lo, 1.0, v25, 1.0
	s_delay_alu instid0(VALU_DEP_1) | instskip(NEXT) | instid1(VALU_DEP_1)
	v_mul_f32_e32 v29, v28, v27
	v_fma_f32 v30, -v26, v29, v28
	s_delay_alu instid0(VALU_DEP_1) | instskip(NEXT) | instid1(VALU_DEP_1)
	v_fmac_f32_e32 v29, v30, v27
	v_fma_f32 v26, -v26, v29, v28
	s_delay_alu instid0(VALU_DEP_1) | instskip(NEXT) | instid1(VALU_DEP_1)
	v_div_fmas_f32 v26, v26, v27, v29
	v_div_fixup_f32 v25, v26, v25, 1.0
.LBB5_21:
	s_or_b32 exec_lo, exec_lo, s2
	s_delay_alu instid0(SALU_CYCLE_1)
	s_mov_b32 s2, exec_lo
	v_cmpx_o_f16_e32 v9, v9
	s_cbranch_execz .LBB5_23
; %bb.22:
	v_cvt_f32_f16_e64 v8, -v9
	s_mov_b32 s3, 0x3fb8aa3b
	s_delay_alu instid0(VALU_DEP_1) | instskip(SKIP_1) | instid1(VALU_DEP_2)
	v_mul_f32_e32 v26, 0x3fb8aa3b, v8
	v_cmp_ngt_f32_e32 vcc_lo, 0xc2ce8ed0, v8
	v_rndne_f32_e32 v27, v26
	v_fma_mix_f32 v28, -v9, s3, -v26 op_sel_hi:[1,0,0]
	s_mov_b32 s3, 0x32a5705f
	s_delay_alu instid0(VALU_DEP_2) | instskip(NEXT) | instid1(VALU_DEP_2)
	v_sub_f32_e32 v26, v26, v27
	v_fma_mix_f32 v28, -v9, s3, v28 op_sel_hi:[1,0,0]
	v_cvt_i32_f32_e32 v27, v27
	s_delay_alu instid0(VALU_DEP_2) | instskip(NEXT) | instid1(VALU_DEP_1)
	v_add_f32_e32 v26, v26, v28
	v_exp_f32_e32 v26, v26
	s_waitcnt_depctr 0xfff
	v_ldexp_f32 v26, v26, v27
	s_delay_alu instid0(VALU_DEP_1) | instskip(SKIP_1) | instid1(VALU_DEP_2)
	v_cndmask_b32_e32 v26, 0, v26, vcc_lo
	v_cmp_nlt_f32_e32 vcc_lo, 0x42b17218, v8
	v_cndmask_b32_e32 v8, 0x7f800000, v26, vcc_lo
	s_delay_alu instid0(VALU_DEP_1) | instskip(NEXT) | instid1(VALU_DEP_1)
	v_add_f32_e32 v8, 1.0, v8
	v_div_scale_f32 v26, null, v8, v8, 1.0
	s_delay_alu instid0(VALU_DEP_1) | instskip(SKIP_2) | instid1(VALU_DEP_1)
	v_rcp_f32_e32 v27, v26
	s_waitcnt_depctr 0xfff
	v_fma_f32 v28, -v26, v27, 1.0
	v_fmac_f32_e32 v27, v28, v27
	v_div_scale_f32 v28, vcc_lo, 1.0, v8, 1.0
	s_delay_alu instid0(VALU_DEP_1) | instskip(NEXT) | instid1(VALU_DEP_1)
	v_mul_f32_e32 v29, v28, v27
	v_fma_f32 v30, -v26, v29, v28
	s_delay_alu instid0(VALU_DEP_1) | instskip(NEXT) | instid1(VALU_DEP_1)
	v_fmac_f32_e32 v29, v30, v27
	v_fma_f32 v26, -v26, v29, v28
	s_delay_alu instid0(VALU_DEP_1) | instskip(NEXT) | instid1(VALU_DEP_1)
	v_div_fmas_f32 v26, v26, v27, v29
	v_div_fixup_f32 v8, v26, v8, 1.0
.LBB5_23:
	s_or_b32 exec_lo, exec_lo, s2
	v_lshrrev_b32_e32 v27, 16, v9
	v_dual_mov_b32 v9, 0 :: v_dual_mov_b32 v26, 0
	s_mov_b32 s2, exec_lo
	s_delay_alu instid0(VALU_DEP_2)
	v_cmpx_o_f16_e32 v27, v27
	s_cbranch_execz .LBB5_25
; %bb.24:
	v_cvt_f32_f16_e64 v26, -v27
	s_mov_b32 s3, 0x3fb8aa3b
	s_delay_alu instid0(VALU_DEP_1) | instskip(SKIP_1) | instid1(VALU_DEP_1)
	v_cmp_ngt_f32_e32 vcc_lo, 0xc2ce8ed0, v26
	v_mul_f32_e32 v28, 0x3fb8aa3b, v26
	v_rndne_f32_e32 v29, v28
	v_fma_mix_f32 v30, -v27, s3, -v28 op_sel_hi:[1,0,0]
	s_mov_b32 s3, 0x32a5705f
	s_delay_alu instid0(VALU_DEP_2) | instskip(NEXT) | instid1(VALU_DEP_2)
	v_sub_f32_e32 v28, v28, v29
	v_fma_mix_f32 v27, -v27, s3, v30 op_sel_hi:[1,0,0]
	s_delay_alu instid0(VALU_DEP_1) | instskip(SKIP_1) | instid1(VALU_DEP_2)
	v_add_f32_e32 v27, v28, v27
	v_cvt_i32_f32_e32 v28, v29
	v_exp_f32_e32 v27, v27
	s_waitcnt_depctr 0xfff
	v_ldexp_f32 v27, v27, v28
	s_delay_alu instid0(VALU_DEP_1) | instskip(SKIP_1) | instid1(VALU_DEP_2)
	v_cndmask_b32_e32 v27, 0, v27, vcc_lo
	v_cmp_nlt_f32_e32 vcc_lo, 0x42b17218, v26
	v_cndmask_b32_e32 v26, 0x7f800000, v27, vcc_lo
	s_delay_alu instid0(VALU_DEP_1) | instskip(NEXT) | instid1(VALU_DEP_1)
	v_add_f32_e32 v26, 1.0, v26
	v_div_scale_f32 v27, null, v26, v26, 1.0
	s_delay_alu instid0(VALU_DEP_1) | instskip(SKIP_2) | instid1(VALU_DEP_1)
	v_rcp_f32_e32 v28, v27
	s_waitcnt_depctr 0xfff
	v_fma_f32 v29, -v27, v28, 1.0
	v_fmac_f32_e32 v28, v29, v28
	v_div_scale_f32 v29, vcc_lo, 1.0, v26, 1.0
	s_delay_alu instid0(VALU_DEP_1) | instskip(NEXT) | instid1(VALU_DEP_1)
	v_mul_f32_e32 v30, v29, v28
	v_fma_f32 v31, -v27, v30, v29
	s_delay_alu instid0(VALU_DEP_1) | instskip(NEXT) | instid1(VALU_DEP_1)
	v_fmac_f32_e32 v30, v31, v28
	v_fma_f32 v27, -v27, v30, v29
	s_delay_alu instid0(VALU_DEP_1) | instskip(NEXT) | instid1(VALU_DEP_1)
	v_div_fmas_f32 v27, v27, v28, v30
	v_div_fixup_f32 v26, v27, v26, 1.0
.LBB5_25:
	s_or_b32 exec_lo, exec_lo, s2
	s_delay_alu instid0(SALU_CYCLE_1)
	s_mov_b32 s2, exec_lo
	v_cmpx_o_f16_e32 v10, v10
	s_cbranch_execz .LBB5_27
; %bb.26:
	v_cvt_f32_f16_e64 v9, -v10
	s_mov_b32 s3, 0x3fb8aa3b
	s_delay_alu instid0(VALU_DEP_1) | instskip(SKIP_1) | instid1(VALU_DEP_2)
	v_mul_f32_e32 v27, 0x3fb8aa3b, v9
	v_cmp_ngt_f32_e32 vcc_lo, 0xc2ce8ed0, v9
	v_rndne_f32_e32 v28, v27
	v_fma_mix_f32 v29, -v10, s3, -v27 op_sel_hi:[1,0,0]
	s_mov_b32 s3, 0x32a5705f
	s_delay_alu instid0(VALU_DEP_2) | instskip(NEXT) | instid1(VALU_DEP_2)
	v_sub_f32_e32 v27, v27, v28
	v_fma_mix_f32 v29, -v10, s3, v29 op_sel_hi:[1,0,0]
	v_cvt_i32_f32_e32 v28, v28
	s_delay_alu instid0(VALU_DEP_2) | instskip(NEXT) | instid1(VALU_DEP_1)
	v_add_f32_e32 v27, v27, v29
	v_exp_f32_e32 v27, v27
	s_waitcnt_depctr 0xfff
	v_ldexp_f32 v27, v27, v28
	s_delay_alu instid0(VALU_DEP_1) | instskip(SKIP_1) | instid1(VALU_DEP_2)
	v_cndmask_b32_e32 v27, 0, v27, vcc_lo
	v_cmp_nlt_f32_e32 vcc_lo, 0x42b17218, v9
	v_cndmask_b32_e32 v9, 0x7f800000, v27, vcc_lo
	s_delay_alu instid0(VALU_DEP_1) | instskip(NEXT) | instid1(VALU_DEP_1)
	v_add_f32_e32 v9, 1.0, v9
	v_div_scale_f32 v27, null, v9, v9, 1.0
	s_delay_alu instid0(VALU_DEP_1) | instskip(SKIP_2) | instid1(VALU_DEP_1)
	v_rcp_f32_e32 v28, v27
	s_waitcnt_depctr 0xfff
	v_fma_f32 v29, -v27, v28, 1.0
	v_fmac_f32_e32 v28, v29, v28
	v_div_scale_f32 v29, vcc_lo, 1.0, v9, 1.0
	s_delay_alu instid0(VALU_DEP_1) | instskip(NEXT) | instid1(VALU_DEP_1)
	v_mul_f32_e32 v30, v29, v28
	v_fma_f32 v31, -v27, v30, v29
	s_delay_alu instid0(VALU_DEP_1) | instskip(NEXT) | instid1(VALU_DEP_1)
	v_fmac_f32_e32 v30, v31, v28
	v_fma_f32 v27, -v27, v30, v29
	s_delay_alu instid0(VALU_DEP_1) | instskip(NEXT) | instid1(VALU_DEP_1)
	v_div_fmas_f32 v27, v27, v28, v30
	v_div_fixup_f32 v9, v27, v9, 1.0
.LBB5_27:
	s_or_b32 exec_lo, exec_lo, s2
	v_lshrrev_b32_e32 v28, 16, v10
	v_dual_mov_b32 v10, 0 :: v_dual_mov_b32 v27, 0
	s_mov_b32 s2, exec_lo
	s_delay_alu instid0(VALU_DEP_2)
	v_cmpx_o_f16_e32 v28, v28
	s_cbranch_execz .LBB5_29
; %bb.28:
	v_cvt_f32_f16_e64 v27, -v28
	s_mov_b32 s3, 0x3fb8aa3b
	s_delay_alu instid0(VALU_DEP_1) | instskip(SKIP_1) | instid1(VALU_DEP_1)
	v_cmp_ngt_f32_e32 vcc_lo, 0xc2ce8ed0, v27
	v_mul_f32_e32 v29, 0x3fb8aa3b, v27
	v_rndne_f32_e32 v30, v29
	v_fma_mix_f32 v31, -v28, s3, -v29 op_sel_hi:[1,0,0]
	s_mov_b32 s3, 0x32a5705f
	s_delay_alu instid0(VALU_DEP_2) | instskip(NEXT) | instid1(VALU_DEP_2)
	v_sub_f32_e32 v29, v29, v30
	v_fma_mix_f32 v28, -v28, s3, v31 op_sel_hi:[1,0,0]
	s_delay_alu instid0(VALU_DEP_1) | instskip(SKIP_1) | instid1(VALU_DEP_2)
	v_add_f32_e32 v28, v29, v28
	v_cvt_i32_f32_e32 v29, v30
	v_exp_f32_e32 v28, v28
	s_waitcnt_depctr 0xfff
	v_ldexp_f32 v28, v28, v29
	s_delay_alu instid0(VALU_DEP_1) | instskip(SKIP_1) | instid1(VALU_DEP_2)
	v_cndmask_b32_e32 v28, 0, v28, vcc_lo
	v_cmp_nlt_f32_e32 vcc_lo, 0x42b17218, v27
	v_cndmask_b32_e32 v27, 0x7f800000, v28, vcc_lo
	s_delay_alu instid0(VALU_DEP_1) | instskip(NEXT) | instid1(VALU_DEP_1)
	v_add_f32_e32 v27, 1.0, v27
	v_div_scale_f32 v28, null, v27, v27, 1.0
	s_delay_alu instid0(VALU_DEP_1) | instskip(SKIP_2) | instid1(VALU_DEP_1)
	v_rcp_f32_e32 v29, v28
	s_waitcnt_depctr 0xfff
	v_fma_f32 v30, -v28, v29, 1.0
	v_fmac_f32_e32 v29, v30, v29
	v_div_scale_f32 v30, vcc_lo, 1.0, v27, 1.0
	s_delay_alu instid0(VALU_DEP_1) | instskip(NEXT) | instid1(VALU_DEP_1)
	v_mul_f32_e32 v31, v30, v29
	v_fma_f32 v32, -v28, v31, v30
	s_delay_alu instid0(VALU_DEP_1) | instskip(NEXT) | instid1(VALU_DEP_1)
	v_fmac_f32_e32 v31, v32, v29
	v_fma_f32 v28, -v28, v31, v30
	s_delay_alu instid0(VALU_DEP_1) | instskip(NEXT) | instid1(VALU_DEP_1)
	v_div_fmas_f32 v28, v28, v29, v31
	v_div_fixup_f32 v27, v28, v27, 1.0
.LBB5_29:
	s_or_b32 exec_lo, exec_lo, s2
	s_delay_alu instid0(SALU_CYCLE_1)
	s_mov_b32 s2, exec_lo
	v_cmpx_o_f16_e32 v11, v11
	s_cbranch_execz .LBB5_31
; %bb.30:
	v_cvt_f32_f16_e64 v10, -v11
	s_mov_b32 s3, 0x3fb8aa3b
	s_delay_alu instid0(VALU_DEP_1) | instskip(SKIP_1) | instid1(VALU_DEP_2)
	v_mul_f32_e32 v28, 0x3fb8aa3b, v10
	v_cmp_ngt_f32_e32 vcc_lo, 0xc2ce8ed0, v10
	v_rndne_f32_e32 v29, v28
	v_fma_mix_f32 v30, -v11, s3, -v28 op_sel_hi:[1,0,0]
	s_mov_b32 s3, 0x32a5705f
	s_delay_alu instid0(VALU_DEP_2) | instskip(NEXT) | instid1(VALU_DEP_2)
	v_sub_f32_e32 v28, v28, v29
	v_fma_mix_f32 v30, -v11, s3, v30 op_sel_hi:[1,0,0]
	v_cvt_i32_f32_e32 v29, v29
	s_delay_alu instid0(VALU_DEP_2) | instskip(NEXT) | instid1(VALU_DEP_1)
	v_add_f32_e32 v28, v28, v30
	v_exp_f32_e32 v28, v28
	s_waitcnt_depctr 0xfff
	v_ldexp_f32 v28, v28, v29
	s_delay_alu instid0(VALU_DEP_1) | instskip(SKIP_1) | instid1(VALU_DEP_2)
	v_cndmask_b32_e32 v28, 0, v28, vcc_lo
	v_cmp_nlt_f32_e32 vcc_lo, 0x42b17218, v10
	v_cndmask_b32_e32 v10, 0x7f800000, v28, vcc_lo
	s_delay_alu instid0(VALU_DEP_1) | instskip(NEXT) | instid1(VALU_DEP_1)
	v_add_f32_e32 v10, 1.0, v10
	v_div_scale_f32 v28, null, v10, v10, 1.0
	s_delay_alu instid0(VALU_DEP_1) | instskip(SKIP_2) | instid1(VALU_DEP_1)
	v_rcp_f32_e32 v29, v28
	s_waitcnt_depctr 0xfff
	v_fma_f32 v30, -v28, v29, 1.0
	v_fmac_f32_e32 v29, v30, v29
	v_div_scale_f32 v30, vcc_lo, 1.0, v10, 1.0
	s_delay_alu instid0(VALU_DEP_1) | instskip(NEXT) | instid1(VALU_DEP_1)
	v_mul_f32_e32 v31, v30, v29
	v_fma_f32 v32, -v28, v31, v30
	s_delay_alu instid0(VALU_DEP_1) | instskip(NEXT) | instid1(VALU_DEP_1)
	v_fmac_f32_e32 v31, v32, v29
	v_fma_f32 v28, -v28, v31, v30
	s_delay_alu instid0(VALU_DEP_1) | instskip(NEXT) | instid1(VALU_DEP_1)
	v_div_fmas_f32 v28, v28, v29, v31
	v_div_fixup_f32 v10, v28, v10, 1.0
.LBB5_31:
	s_or_b32 exec_lo, exec_lo, s2
	v_lshrrev_b32_e32 v28, 16, v11
	v_mov_b32_e32 v11, 0
	s_mov_b32 s2, exec_lo
	s_delay_alu instid0(VALU_DEP_2)
	v_cmpx_o_f16_e32 v28, v28
	s_cbranch_execz .LBB5_33
; %bb.32:
	v_cvt_f32_f16_e64 v11, -v28
	s_mov_b32 s3, 0x3fb8aa3b
	s_delay_alu instid0(VALU_DEP_1) | instskip(SKIP_1) | instid1(VALU_DEP_1)
	v_cmp_ngt_f32_e32 vcc_lo, 0xc2ce8ed0, v11
	v_mul_f32_e32 v29, 0x3fb8aa3b, v11
	v_rndne_f32_e32 v30, v29
	v_fma_mix_f32 v31, -v28, s3, -v29 op_sel_hi:[1,0,0]
	s_mov_b32 s3, 0x32a5705f
	s_delay_alu instid0(VALU_DEP_2) | instskip(NEXT) | instid1(VALU_DEP_2)
	v_sub_f32_e32 v29, v29, v30
	v_fma_mix_f32 v28, -v28, s3, v31 op_sel_hi:[1,0,0]
	s_delay_alu instid0(VALU_DEP_1) | instskip(SKIP_1) | instid1(VALU_DEP_2)
	v_add_f32_e32 v28, v29, v28
	v_cvt_i32_f32_e32 v29, v30
	v_exp_f32_e32 v28, v28
	s_waitcnt_depctr 0xfff
	v_ldexp_f32 v28, v28, v29
	s_delay_alu instid0(VALU_DEP_1) | instskip(SKIP_1) | instid1(VALU_DEP_2)
	v_cndmask_b32_e32 v28, 0, v28, vcc_lo
	v_cmp_nlt_f32_e32 vcc_lo, 0x42b17218, v11
	v_cndmask_b32_e32 v11, 0x7f800000, v28, vcc_lo
	s_delay_alu instid0(VALU_DEP_1) | instskip(NEXT) | instid1(VALU_DEP_1)
	v_add_f32_e32 v11, 1.0, v11
	v_div_scale_f32 v28, null, v11, v11, 1.0
	s_delay_alu instid0(VALU_DEP_1) | instskip(SKIP_2) | instid1(VALU_DEP_1)
	v_rcp_f32_e32 v29, v28
	s_waitcnt_depctr 0xfff
	v_fma_f32 v30, -v28, v29, 1.0
	v_fmac_f32_e32 v29, v30, v29
	v_div_scale_f32 v30, vcc_lo, 1.0, v11, 1.0
	s_delay_alu instid0(VALU_DEP_1) | instskip(NEXT) | instid1(VALU_DEP_1)
	v_mul_f32_e32 v31, v30, v29
	v_fma_f32 v32, -v28, v31, v30
	s_delay_alu instid0(VALU_DEP_1) | instskip(NEXT) | instid1(VALU_DEP_1)
	v_fmac_f32_e32 v31, v32, v29
	v_fma_f32 v28, -v28, v31, v30
	s_delay_alu instid0(VALU_DEP_1) | instskip(NEXT) | instid1(VALU_DEP_1)
	v_div_fmas_f32 v28, v28, v29, v31
	v_div_fixup_f32 v11, v28, v11, 1.0
.LBB5_33:
	s_or_b32 exec_lo, exec_lo, s2
	s_waitcnt vmcnt(0)
	v_lshrrev_b32_e32 v28, 16, v4
	v_cvt_f32_f16_e32 v4, v4
	s_mov_b32 s2, exec_lo
	s_delay_alu instid0(VALU_DEP_2) | instskip(NEXT) | instid1(VALU_DEP_1)
	v_cvt_f32_f16_e32 v29, v28
	v_dual_add_f32 v28, v19, v4 :: v_dual_add_f32 v29, v20, v29
	s_delay_alu instid0(VALU_DEP_1) | instskip(NEXT) | instid1(VALU_DEP_1)
	v_dual_max_f32 v30, 0xff7fffff, v28 :: v_dual_mov_b32 v31, v29
	v_mov_b32_e32 v4, v30
	v_cmpx_ngt_f32_e32 v29, v30
	s_cbranch_execz .LBB5_37
; %bb.34:
	v_mov_b32_e32 v4, 0xff7fffff
	s_mov_b32 s3, exec_lo
	v_cmpx_lt_f32_e32 0xff7fffff, v29
; %bb.35:
	v_mov_b32_e32 v4, v29
; %bb.36:
	s_or_b32 exec_lo, exec_lo, s3
	v_mov_b32_e32 v31, v30
.LBB5_37:
	s_or_b32 exec_lo, exec_lo, s2
	v_cvt_f32_f16_e32 v30, v5
	s_mov_b32 s2, exec_lo
	s_delay_alu instid0(VALU_DEP_1) | instskip(NEXT) | instid1(VALU_DEP_1)
	v_add_f32_e32 v30, v12, v30
	v_dual_mov_b32 v32, v31 :: v_dual_mov_b32 v33, v30
	v_cmpx_ngt_f32_e32 v30, v31
	s_cbranch_execz .LBB5_41
; %bb.38:
	s_mov_b32 s3, exec_lo
	v_cmpx_gt_f32_e32 v30, v4
; %bb.39:
	v_mov_b32_e32 v4, v30
; %bb.40:
	s_or_b32 exec_lo, exec_lo, s3
	s_delay_alu instid0(VALU_DEP_1)
	v_dual_mov_b32 v32, v4 :: v_dual_mov_b32 v33, v31
.LBB5_41:
	s_or_b32 exec_lo, exec_lo, s2
	v_lshrrev_b32_e32 v4, 16, v5
	s_mov_b32 s2, exec_lo
	s_delay_alu instid0(VALU_DEP_1) | instskip(NEXT) | instid1(VALU_DEP_1)
	v_cvt_f32_f16_e32 v4, v4
	v_add_f32_e32 v31, v21, v4
	s_delay_alu instid0(VALU_DEP_1)
	v_dual_mov_b32 v34, v33 :: v_dual_mov_b32 v35, v31
	v_cmpx_ngt_f32_e32 v31, v33
	s_cbranch_execz .LBB5_45
; %bb.42:
	s_mov_b32 s3, exec_lo
	v_cmpx_gt_f32_e32 v31, v32
; %bb.43:
	v_mov_b32_e32 v32, v31
; %bb.44:
	s_or_b32 exec_lo, exec_lo, s3
	s_delay_alu instid0(VALU_DEP_1)
	v_dual_mov_b32 v34, v32 :: v_dual_mov_b32 v35, v33
.LBB5_45:
	s_or_b32 exec_lo, exec_lo, s2
	v_cvt_f32_f16_e32 v4, v6
	s_mov_b32 s2, exec_lo
	s_delay_alu instid0(VALU_DEP_1) | instskip(NEXT) | instid1(VALU_DEP_1)
	v_add_f32_e32 v32, v13, v4
	v_dual_mov_b32 v4, v35 :: v_dual_mov_b32 v5, v32
	v_cmpx_ngt_f32_e32 v32, v35
	s_cbranch_execz .LBB5_49
; %bb.46:
	s_mov_b32 s3, exec_lo
	v_cmpx_gt_f32_e32 v32, v34
; %bb.47:
	v_mov_b32_e32 v34, v32
; %bb.48:
	s_or_b32 exec_lo, exec_lo, s3
	s_delay_alu instid0(VALU_DEP_1)
	v_dual_mov_b32 v4, v34 :: v_dual_mov_b32 v5, v35
.LBB5_49:
	s_or_b32 exec_lo, exec_lo, s2
	v_lshrrev_b32_e32 v6, 16, v6
	s_mov_b32 s2, exec_lo
	s_delay_alu instid0(VALU_DEP_1) | instskip(NEXT) | instid1(VALU_DEP_1)
	v_cvt_f32_f16_e32 v6, v6
	v_add_f32_e32 v6, v22, v6
	s_delay_alu instid0(VALU_DEP_1)
	v_dual_mov_b32 v34, v5 :: v_dual_mov_b32 v35, v6
	v_cmpx_ngt_f32_e32 v6, v5
	s_cbranch_execz .LBB5_53
; %bb.50:
	s_mov_b32 s3, exec_lo
	v_cmpx_gt_f32_e32 v6, v4
; %bb.51:
	v_mov_b32_e32 v4, v6
; %bb.52:
	s_or_b32 exec_lo, exec_lo, s3
	s_delay_alu instid0(VALU_DEP_1)
	v_dual_mov_b32 v34, v4 :: v_dual_mov_b32 v35, v5
.LBB5_53:
	s_or_b32 exec_lo, exec_lo, s2
	v_cvt_f32_f16_e32 v4, v7
	s_mov_b32 s2, exec_lo
	s_delay_alu instid0(VALU_DEP_1) | instskip(NEXT) | instid1(VALU_DEP_1)
	v_dual_add_f32 v33, v14, v4 :: v_dual_mov_b32 v4, v35
	v_mov_b32_e32 v5, v33
	v_cmpx_ngt_f32_e32 v33, v35
	s_cbranch_execz .LBB5_57
; %bb.54:
	s_mov_b32 s3, exec_lo
	v_cmpx_gt_f32_e32 v33, v34
; %bb.55:
	v_mov_b32_e32 v34, v33
; %bb.56:
	s_or_b32 exec_lo, exec_lo, s3
	s_delay_alu instid0(VALU_DEP_1)
	v_dual_mov_b32 v4, v34 :: v_dual_mov_b32 v5, v35
.LBB5_57:
	s_or_b32 exec_lo, exec_lo, s2
	v_lshrrev_b32_e32 v7, 16, v7
	s_mov_b32 s2, exec_lo
	s_delay_alu instid0(VALU_DEP_1) | instskip(NEXT) | instid1(VALU_DEP_1)
	v_cvt_f32_f16_e32 v7, v7
	v_add_f32_e32 v7, v24, v7
	s_delay_alu instid0(VALU_DEP_1)
	v_dual_mov_b32 v35, v5 :: v_dual_mov_b32 v36, v7
	v_cmpx_ngt_f32_e32 v7, v5
	s_cbranch_execz .LBB5_61
; %bb.58:
	s_mov_b32 s3, exec_lo
	v_cmpx_gt_f32_e32 v7, v4
; %bb.59:
	v_mov_b32_e32 v4, v7
; %bb.60:
	s_or_b32 exec_lo, exec_lo, s3
	s_delay_alu instid0(VALU_DEP_1)
	v_dual_mov_b32 v35, v4 :: v_dual_mov_b32 v36, v5
.LBB5_61:
	s_or_b32 exec_lo, exec_lo, s2
	v_cvt_f32_f16_e32 v4, v0
	s_mov_b32 s2, exec_lo
	s_delay_alu instid0(VALU_DEP_1) | instskip(NEXT) | instid1(VALU_DEP_1)
	v_add_f32_e32 v34, v15, v4
	v_dual_mov_b32 v4, v36 :: v_dual_mov_b32 v5, v34
	v_cmpx_ngt_f32_e32 v34, v36
	s_cbranch_execz .LBB5_65
; %bb.62:
	s_mov_b32 s3, exec_lo
	v_cmpx_gt_f32_e32 v34, v35
; %bb.63:
	v_mov_b32_e32 v35, v34
; %bb.64:
	s_or_b32 exec_lo, exec_lo, s3
	s_delay_alu instid0(VALU_DEP_1)
	v_dual_mov_b32 v4, v35 :: v_dual_mov_b32 v5, v36
.LBB5_65:
	s_or_b32 exec_lo, exec_lo, s2
	v_lshrrev_b32_e32 v0, 16, v0
	s_mov_b32 s2, exec_lo
	s_delay_alu instid0(VALU_DEP_1) | instskip(NEXT) | instid1(VALU_DEP_1)
	v_cvt_f32_f16_e32 v0, v0
	v_add_f32_e32 v35, v25, v0
	s_delay_alu instid0(VALU_DEP_1)
	v_dual_mov_b32 v37, v5 :: v_dual_mov_b32 v38, v35
	v_cmpx_ngt_f32_e32 v35, v5
	s_cbranch_execz .LBB5_69
; %bb.66:
	s_mov_b32 s3, exec_lo
	v_cmpx_gt_f32_e32 v35, v4
; %bb.67:
	v_mov_b32_e32 v4, v35
; %bb.68:
	s_or_b32 exec_lo, exec_lo, s3
	s_delay_alu instid0(VALU_DEP_1)
	v_dual_mov_b32 v37, v4 :: v_dual_mov_b32 v38, v5
.LBB5_69:
	s_or_b32 exec_lo, exec_lo, s2
	v_cvt_f32_f16_e32 v0, v1
	s_mov_b32 s2, exec_lo
	s_delay_alu instid0(VALU_DEP_1) | instskip(SKIP_1) | instid1(VALU_DEP_2)
	v_add_f32_e32 v36, v8, v0
	v_mov_b32_e32 v0, v38
	v_mov_b32_e32 v4, v36
	v_cmpx_ngt_f32_e32 v36, v38
	s_cbranch_execz .LBB5_73
; %bb.70:
	s_mov_b32 s3, exec_lo
	v_cmpx_gt_f32_e32 v36, v37
; %bb.71:
	v_mov_b32_e32 v37, v36
; %bb.72:
	s_or_b32 exec_lo, exec_lo, s3
	s_delay_alu instid0(VALU_DEP_1)
	v_mov_b32_e32 v0, v37
	v_mov_b32_e32 v4, v38
.LBB5_73:
	s_or_b32 exec_lo, exec_lo, s2
	v_lshrrev_b32_e32 v1, 16, v1
	s_delay_alu instid0(VALU_DEP_2) | instskip(SKIP_1) | instid1(VALU_DEP_2)
	v_mov_b32_e32 v5, v4
	s_mov_b32 s2, exec_lo
	v_cvt_f32_f16_e32 v1, v1
	s_delay_alu instid0(VALU_DEP_1) | instskip(NEXT) | instid1(VALU_DEP_1)
	v_add_f32_e32 v37, v26, v1
	v_mov_b32_e32 v39, v37
	v_cmpx_ngt_f32_e32 v37, v4
	s_cbranch_execz .LBB5_77
; %bb.74:
	s_mov_b32 s3, exec_lo
	v_cmpx_gt_f32_e32 v37, v0
; %bb.75:
	v_mov_b32_e32 v0, v37
; %bb.76:
	s_or_b32 exec_lo, exec_lo, s3
	s_delay_alu instid0(VALU_DEP_1)
	v_mov_b32_e32 v5, v0
	v_mov_b32_e32 v39, v4
.LBB5_77:
	s_or_b32 exec_lo, exec_lo, s2
	v_cvt_f32_f16_e32 v0, v2
	s_mov_b32 s2, exec_lo
	s_delay_alu instid0(VALU_DEP_1) | instskip(NEXT) | instid1(VALU_DEP_1)
	v_add_f32_e32 v38, v9, v0
	v_dual_mov_b32 v0, v39 :: v_dual_mov_b32 v1, v38
	v_cmpx_ngt_f32_e32 v38, v39
	s_cbranch_execz .LBB5_81
; %bb.78:
	s_mov_b32 s3, exec_lo
	v_cmpx_gt_f32_e32 v38, v5
; %bb.79:
	v_mov_b32_e32 v5, v38
; %bb.80:
	s_or_b32 exec_lo, exec_lo, s3
	s_delay_alu instid0(VALU_DEP_1)
	v_dual_mov_b32 v0, v5 :: v_dual_mov_b32 v1, v39
.LBB5_81:
	s_or_b32 exec_lo, exec_lo, s2
	v_lshrrev_b32_e32 v2, 16, v2
	s_mov_b32 s2, exec_lo
	s_delay_alu instid0(VALU_DEP_1) | instskip(NEXT) | instid1(VALU_DEP_1)
	v_cvt_f32_f16_e32 v2, v2
	v_dual_add_f32 v39, v27, v2 :: v_dual_mov_b32 v2, v1
	s_delay_alu instid0(VALU_DEP_1)
	v_mov_b32_e32 v4, v39
	v_cmpx_ngt_f32_e32 v39, v1
	s_cbranch_execz .LBB5_85
; %bb.82:
	s_mov_b32 s3, exec_lo
	v_cmpx_gt_f32_e32 v39, v0
; %bb.83:
	v_mov_b32_e32 v0, v39
; %bb.84:
	s_or_b32 exec_lo, exec_lo, s3
	s_delay_alu instid0(VALU_DEP_1)
	v_mov_b32_e32 v2, v0
	v_mov_b32_e32 v4, v1
.LBB5_85:
	s_or_b32 exec_lo, exec_lo, s2
	v_cvt_f32_f16_e32 v0, v3
	s_mov_b32 s2, exec_lo
	s_delay_alu instid0(VALU_DEP_1) | instskip(SKIP_1) | instid1(VALU_DEP_2)
	v_add_f32_e32 v40, v10, v0
	v_mov_b32_e32 v0, v4
	v_mov_b32_e32 v1, v40
	v_cmpx_ngt_f32_e32 v40, v4
	s_cbranch_execz .LBB5_89
; %bb.86:
	s_mov_b32 s3, exec_lo
	v_cmpx_gt_f32_e32 v40, v2
; %bb.87:
	v_mov_b32_e32 v2, v40
; %bb.88:
	s_or_b32 exec_lo, exec_lo, s3
	s_delay_alu instid0(VALU_DEP_1)
	v_dual_mov_b32 v0, v2 :: v_dual_mov_b32 v1, v4
.LBB5_89:
	s_or_b32 exec_lo, exec_lo, s2
	v_lshrrev_b32_e32 v2, 16, v3
	s_mov_b32 s2, exec_lo
	s_delay_alu instid0(VALU_DEP_1) | instskip(NEXT) | instid1(VALU_DEP_1)
	v_cvt_f32_f16_e32 v2, v2
	v_dual_add_f32 v41, v11, v2 :: v_dual_mov_b32 v2, v1
	s_delay_alu instid0(VALU_DEP_1)
	v_mov_b32_e32 v3, v41
	v_cmpx_ngt_f32_e32 v41, v1
	s_cbranch_execz .LBB5_93
; %bb.90:
	s_mov_b32 s3, exec_lo
	v_cmpx_gt_f32_e32 v41, v0
; %bb.91:
	v_mov_b32_e32 v0, v41
; %bb.92:
	s_or_b32 exec_lo, exec_lo, s3
	s_delay_alu instid0(VALU_DEP_1)
	v_dual_mov_b32 v2, v0 :: v_dual_mov_b32 v3, v1
.LBB5_93:
	s_or_b32 exec_lo, exec_lo, s2
	v_cmp_lt_i64_e64 s2, s[26:27], 16
	v_lshlrev_b32_e32 v42, 4, v18
	s_delay_alu instid0(VALU_DEP_2)
	s_and_b32 vcc_lo, exec_lo, s2
	s_cbranch_vccz .LBB5_96
; %bb.94:
	v_add_f32_e32 v0, v2, v3
	s_sub_u32 s4, 16, s26
	s_subb_u32 s5, 0, s27
	s_mov_b64 s[6:7], 0
.LBB5_95:                               ; =>This Inner Loop Header: Depth=1
	s_delay_alu instid0(VALU_DEP_1) | instskip(SKIP_1) | instid1(VALU_DEP_2)
	v_mov_b32_dpp v1, v0 quad_perm:[1,0,3,2] row_mask:0xf bank_mask:0xf
	v_mov_b32_dpp v2, v42 quad_perm:[1,0,3,2] row_mask:0xf bank_mask:0xf
	v_cmp_eq_f32_e32 vcc_lo, v0, v1
	s_delay_alu instid0(VALU_DEP_2) | instskip(SKIP_1) | instid1(VALU_DEP_2)
	v_cmp_lt_i32_e64 s2, v42, v2
	v_cmp_lt_f32_e64 s3, v0, v1
	s_and_b32 s2, s2, vcc_lo
	s_delay_alu instid0(VALU_DEP_1) | instid1(SALU_CYCLE_1)
	s_or_b32 vcc_lo, s3, s2
	v_dual_cndmask_b32 v1, v1, v0 :: v_dual_cndmask_b32 v2, v2, v42
	s_delay_alu instid0(VALU_DEP_1) | instskip(NEXT) | instid1(VALU_DEP_2)
	v_mov_b32_dpp v3, v1 quad_perm:[2,3,0,1] row_mask:0xf bank_mask:0xf
	v_mov_b32_dpp v4, v2 quad_perm:[2,3,0,1] row_mask:0xf bank_mask:0xf
	s_delay_alu instid0(VALU_DEP_2) | instskip(NEXT) | instid1(VALU_DEP_2)
	v_cmp_eq_f32_e32 vcc_lo, v1, v3
	v_cmp_lt_i32_e64 s2, v2, v4
	s_delay_alu instid0(VALU_DEP_1) | instskip(SKIP_2) | instid1(VALU_DEP_2)
	s_and_b32 vcc_lo, vcc_lo, s2
	v_cmp_lt_f32_e64 s2, v1, v3
	v_cndmask_b32_e32 v5, v3, v1, vcc_lo
	s_or_b32 vcc_lo, s2, vcc_lo
	v_cndmask_b32_e32 v2, v4, v2, vcc_lo
	s_delay_alu instid0(VALU_DEP_2) | instskip(NEXT) | instid1(VALU_DEP_2)
	v_cndmask_b32_e64 v1, v5, v1, s2
	v_mov_b32_dpp v4, v2 row_half_mirror row_mask:0xf bank_mask:0xf
	s_delay_alu instid0(VALU_DEP_2) | instskip(NEXT) | instid1(VALU_DEP_2)
	v_mov_b32_dpp v3, v1 row_half_mirror row_mask:0xf bank_mask:0xf
	v_cmp_lt_i32_e64 s2, v2, v4
	s_delay_alu instid0(VALU_DEP_2) | instskip(NEXT) | instid1(VALU_DEP_2)
	v_cmp_eq_f32_e32 vcc_lo, v1, v3
	s_and_b32 vcc_lo, vcc_lo, s2
	v_cmp_lt_f32_e64 s2, v1, v3
	v_cndmask_b32_e32 v5, v3, v1, vcc_lo
	s_delay_alu instid0(VALU_DEP_2) | instskip(SKIP_2) | instid1(VALU_DEP_2)
	s_or_b32 vcc_lo, s2, vcc_lo
	s_add_u32 s6, s6, 1
	v_cndmask_b32_e32 v2, v4, v2, vcc_lo
	v_cndmask_b32_e64 v1, v5, v1, s2
	s_addc_u32 s7, s7, 0
	s_delay_alu instid0(SALU_CYCLE_1) | instskip(NEXT) | instid1(VALU_DEP_3)
	v_cmp_le_i64_e64 s2, s[4:5], s[6:7]
	v_mov_b32_dpp v3, v2 row_mirror row_mask:0xf bank_mask:0xf
	s_delay_alu instid0(VALU_DEP_3) | instskip(NEXT) | instid1(VALU_DEP_2)
	v_mov_b32_dpp v4, v1 row_mirror row_mask:0xf bank_mask:0xf
	v_min_i32_e32 v5, v2, v3
	s_delay_alu instid0(VALU_DEP_2) | instskip(NEXT) | instid1(VALU_DEP_2)
	v_cmp_eq_f32_e32 vcc_lo, v1, v4
	v_cndmask_b32_e32 v3, v3, v5, vcc_lo
	v_cmp_lt_f32_e32 vcc_lo, v1, v4
	s_delay_alu instid0(VALU_DEP_2) | instskip(NEXT) | instid1(VALU_DEP_1)
	v_cndmask_b32_e32 v1, v3, v2, vcc_lo
	v_ashrrev_i32_e32 v2, 31, v1
	s_delay_alu instid0(VALU_DEP_1) | instskip(NEXT) | instid1(VALU_DEP_1)
	v_lshrrev_b32_e32 v2, 28, v2
	v_add_nc_u32_e32 v1, v1, v2
	s_delay_alu instid0(VALU_DEP_1) | instskip(NEXT) | instid1(VALU_DEP_1)
	v_ashrrev_i32_e32 v1, 4, v1
	v_cmp_eq_u32_e32 vcc_lo, v18, v1
	v_cndmask_b32_e64 v28, v28, 0x7f7fffff, vcc_lo
	v_cndmask_b32_e64 v0, v0, 0x7f7fffff, vcc_lo
	s_and_b32 vcc_lo, exec_lo, s2
	s_cbranch_vccz .LBB5_95
.LBB5_96:
	s_sub_u32 s18, s28, s30
	s_subb_u32 s19, s29, s31
	s_mov_b64 s[2:3], src_shared_base
	s_cmp_lg_u32 0, -1
	v_lshlrev_b32_e32 v4, 2, v23
	s_cselect_b32 s2, s3, 0
	s_cselect_b32 s3, 0, 0
	s_load_b32 s26, s[0:1], 0x48
	s_add_u32 s4, s3, 0xff
	s_addc_u32 s3, s2, 0
	s_and_b32 s2, s4, 0xffffff00
	s_delay_alu instid0(SALU_CYCLE_1) | instskip(SKIP_1) | instid1(VALU_DEP_1)
	v_mad_u64_u32 v[0:1], null, v4, s28, s[2:3]
	v_cmp_lt_i64_e64 s2, s[18:19], 1
	s_and_b32 vcc_lo, exec_lo, s2
	s_delay_alu instid0(VALU_DEP_2) | instskip(SKIP_1) | instid1(VALU_DEP_2)
	v_mad_u64_u32 v[2:3], null, v4, s29, v[1:2]
	v_cmp_eq_u32_e64 s2, 0, v18
	v_mov_b32_e32 v1, v2
	s_cbranch_vccnz .LBB5_107
; %bb.97:
	s_waitcnt lgkmcnt(0)
	v_mad_u64_u32 v[2:3], null, s26, v16, 0
	s_ashr_i32 s3, s26, 31
	v_mul_u32_u24_e32 v43, 16, v18
	v_mov_b32_e32 v23, 0
	s_mov_b64 s[24:25], 0
	s_delay_alu instid0(VALU_DEP_3) | instskip(NEXT) | instid1(VALU_DEP_1)
	v_mad_u64_u32 v[4:5], null, s3, v16, v[3:4]
	v_mov_b32_e32 v3, v4
	v_dual_mov_b32 v5, v1 :: v_dual_mov_b32 v4, v0
	s_delay_alu instid0(VALU_DEP_2) | instskip(NEXT) | instid1(VALU_DEP_1)
	v_lshlrev_b64 v[2:3], 2, v[2:3]
	v_add_co_u32 v2, vcc_lo, s22, v2
	s_delay_alu instid0(VALU_DEP_2)
	v_add_co_ci_u32_e32 v3, vcc_lo, s23, v3, vcc_lo
	s_branch .LBB5_99
.LBB5_98:                               ;   in Loop: Header=BB5_99 Depth=1
	s_or_b32 exec_lo, exec_lo, s3
	s_add_u32 s24, s24, 1
	s_addc_u32 s25, s25, 0
	v_add_co_u32 v2, vcc_lo, v2, 4
	v_cmp_le_i64_e64 s3, s[18:19], s[24:25]
	v_add_co_ci_u32_e32 v3, vcc_lo, 0, v3, vcc_lo
	v_add_co_u32 v4, vcc_lo, v4, 4
	v_add_co_ci_u32_e32 v5, vcc_lo, 0, v5, vcc_lo
	s_delay_alu instid0(VALU_DEP_4)
	s_and_b32 vcc_lo, exec_lo, s3
	s_cbranch_vccnz .LBB5_108
.LBB5_99:                               ; =>This Inner Loop Header: Depth=1
	v_dual_mov_b32 v44, 0xff7fffff :: v_dual_mov_b32 v45, v42
	s_mov_b32 s3, exec_lo
	v_cmpx_neq_f32_e32 0x7f7fffff, v28
	s_cbranch_execz .LBB5_101
; %bb.100:                              ;   in Loop: Header=BB5_99 Depth=1
	v_cmp_gt_f32_e32 vcc_lo, v29, v28
	v_cndmask_b32_e32 v44, v28, v29, vcc_lo
	v_cndmask_b32_e64 v45, 0, 1, vcc_lo
	s_delay_alu instid0(VALU_DEP_2) | instskip(SKIP_1) | instid1(VALU_DEP_3)
	v_cmp_gt_f32_e32 vcc_lo, v30, v44
	v_cndmask_b32_e32 v44, v44, v30, vcc_lo
	v_cndmask_b32_e64 v45, v45, 2, vcc_lo
	s_delay_alu instid0(VALU_DEP_2) | instskip(SKIP_1) | instid1(VALU_DEP_3)
	;; [unrolled: 4-line block ×13, first 2 shown]
	v_cmp_gt_f32_e32 vcc_lo, v40, v44
	v_cndmask_b32_e32 v44, v44, v40, vcc_lo
	v_cndmask_b32_e64 v45, v45, 14, vcc_lo
	s_delay_alu instid0(VALU_DEP_2) | instskip(NEXT) | instid1(VALU_DEP_2)
	v_cmp_gt_f32_e32 vcc_lo, v41, v44
	v_cndmask_b32_e64 v45, v45, 15, vcc_lo
	v_cndmask_b32_e32 v44, v44, v41, vcc_lo
	s_delay_alu instid0(VALU_DEP_2)
	v_or_b32_e32 v45, v45, v42
.LBB5_101:                              ;   in Loop: Header=BB5_99 Depth=1
	s_or_b32 exec_lo, exec_lo, s3
	s_delay_alu instid0(VALU_DEP_2) | instskip(NEXT) | instid1(VALU_DEP_2)
	v_mov_b32_dpp v46, v44 quad_perm:[1,0,3,2] row_mask:0xf bank_mask:0xf
	v_mov_b32_dpp v47, v45 quad_perm:[1,0,3,2] row_mask:0xf bank_mask:0xf
	s_mov_b32 s27, exec_lo
	s_delay_alu instid0(VALU_DEP_2) | instskip(NEXT) | instid1(VALU_DEP_2)
	v_cmp_eq_f32_e32 vcc_lo, v44, v46
	v_cmp_lt_i32_e64 s3, v45, v47
	v_cmp_gt_f32_e64 s4, v44, v46
	s_delay_alu instid0(VALU_DEP_2)
	s_and_b32 s3, vcc_lo, s3
	s_delay_alu instid0(VALU_DEP_1) | instid1(SALU_CYCLE_1)
	s_or_b32 vcc_lo, s4, s3
	v_dual_cndmask_b32 v44, v46, v44 :: v_dual_cndmask_b32 v45, v47, v45
	s_delay_alu instid0(VALU_DEP_1) | instskip(NEXT) | instid1(VALU_DEP_2)
	v_mov_b32_dpp v46, v44 quad_perm:[2,3,0,1] row_mask:0xf bank_mask:0xf
	v_mov_b32_dpp v47, v45 quad_perm:[2,3,0,1] row_mask:0xf bank_mask:0xf
	s_delay_alu instid0(VALU_DEP_2) | instskip(NEXT) | instid1(VALU_DEP_2)
	v_cmp_eq_f32_e32 vcc_lo, v44, v46
	v_cmp_lt_i32_e64 s3, v45, v47
	s_delay_alu instid0(VALU_DEP_1) | instskip(SKIP_2) | instid1(VALU_DEP_2)
	s_and_b32 vcc_lo, vcc_lo, s3
	v_cmp_gt_f32_e64 s3, v44, v46
	v_cndmask_b32_e32 v48, v46, v44, vcc_lo
	s_or_b32 vcc_lo, s3, vcc_lo
	v_cndmask_b32_e32 v45, v47, v45, vcc_lo
	s_delay_alu instid0(VALU_DEP_2) | instskip(NEXT) | instid1(VALU_DEP_2)
	v_cndmask_b32_e64 v44, v48, v44, s3
	v_mov_b32_dpp v47, v45 row_half_mirror row_mask:0xf bank_mask:0xf
	s_delay_alu instid0(VALU_DEP_2) | instskip(NEXT) | instid1(VALU_DEP_2)
	v_mov_b32_dpp v46, v44 row_half_mirror row_mask:0xf bank_mask:0xf
	v_cmp_lt_i32_e64 s3, v45, v47
	s_delay_alu instid0(VALU_DEP_2) | instskip(NEXT) | instid1(VALU_DEP_2)
	v_cmp_eq_f32_e32 vcc_lo, v44, v46
	s_and_b32 vcc_lo, vcc_lo, s3
	v_cmp_gt_f32_e64 s3, v44, v46
	v_cndmask_b32_e32 v48, v46, v44, vcc_lo
	s_delay_alu instid0(VALU_DEP_2) | instskip(SKIP_1) | instid1(VALU_DEP_2)
	s_or_b32 vcc_lo, s3, vcc_lo
	v_cndmask_b32_e32 v45, v47, v45, vcc_lo
	v_cndmask_b32_e64 v44, v48, v44, s3
	s_delay_alu instid0(VALU_DEP_2) | instskip(NEXT) | instid1(VALU_DEP_2)
	v_mov_b32_dpp v46, v45 row_mirror row_mask:0xf bank_mask:0xf
	v_mov_b32_dpp v47, v44 row_mirror row_mask:0xf bank_mask:0xf
	s_delay_alu instid0(VALU_DEP_2) | instskip(NEXT) | instid1(VALU_DEP_2)
	v_min_i32_e32 v48, v45, v46
	v_cmp_eq_f32_e32 vcc_lo, v44, v47
	s_delay_alu instid0(VALU_DEP_2) | instskip(SKIP_1) | instid1(VALU_DEP_2)
	v_cndmask_b32_e32 v46, v46, v48, vcc_lo
	v_cmp_gt_f32_e32 vcc_lo, v44, v47
	v_cndmask_b32_e32 v44, v46, v45, vcc_lo
	s_delay_alu instid0(VALU_DEP_1) | instskip(NEXT) | instid1(VALU_DEP_1)
	v_ashrrev_i32_e32 v45, 31, v44
	v_lshrrev_b32_e32 v45, 28, v45
	s_delay_alu instid0(VALU_DEP_1) | instskip(NEXT) | instid1(VALU_DEP_1)
	v_add_nc_u32_e32 v45, v44, v45
	v_ashrrev_i32_e32 v45, 4, v45
	s_delay_alu instid0(VALU_DEP_1)
	v_cmpx_eq_u32_e64 v18, v45
	s_cbranch_execz .LBB5_105
; %bb.102:                              ;   in Loop: Header=BB5_99 Depth=1
	v_sub_nc_u32_e32 v45, v44, v43
	s_mov_b32 s33, exec_lo
	s_delay_alu instid0(VALU_DEP_1)
	v_cmp_eq_u32_e32 vcc_lo, 1, v45
	v_cmp_eq_u32_e64 s3, 2, v45
	v_cmp_eq_u32_e64 s4, 3, v45
	;; [unrolled: 1-line block ×14, first 2 shown]
	v_cmpx_gt_u32_e32 16, v45
	s_cbranch_execz .LBB5_104
; %bb.103:                              ;   in Loop: Header=BB5_99 Depth=1
	v_cndmask_b32_e32 v46, v19, v20, vcc_lo
	s_delay_alu instid0(VALU_DEP_1) | instskip(NEXT) | instid1(VALU_DEP_1)
	v_cndmask_b32_e64 v46, v46, v12, s3
	v_cndmask_b32_e64 v46, v46, v21, s4
	s_delay_alu instid0(VALU_DEP_1) | instskip(NEXT) | instid1(VALU_DEP_1)
	v_cndmask_b32_e64 v46, v46, v13, s5
	v_cndmask_b32_e64 v46, v46, v22, s6
	;; [unrolled: 3-line block ×7, first 2 shown]
	flat_store_b32 v[4:5], v46
.LBB5_104:                              ;   in Loop: Header=BB5_99 Depth=1
	s_or_b32 exec_lo, exec_lo, s33
	v_cmp_ne_u32_e64 s17, 0, v45
	v_cndmask_b32_e64 v29, v29, 0xff7fffff, vcc_lo
	v_cndmask_b32_e64 v30, v30, 0xff7fffff, s3
	v_cndmask_b32_e64 v31, v31, 0xff7fffff, s4
	;; [unrolled: 1-line block ×15, first 2 shown]
	global_store_b32 v[2:3], v44, off
.LBB5_105:                              ;   in Loop: Header=BB5_99 Depth=1
	s_or_b32 exec_lo, exec_lo, s27
	s_waitcnt lgkmcnt(0)
	s_waitcnt_vscnt null, 0x0
	s_barrier
	buffer_gl0_inv
	s_and_saveexec_b32 s3, s2
	s_cbranch_execz .LBB5_98
; %bb.106:                              ;   in Loop: Header=BB5_99 Depth=1
	flat_load_b32 v44, v[4:5]
	s_waitcnt vmcnt(0) lgkmcnt(0)
	v_add_f32_e32 v23, v23, v44
	s_branch .LBB5_98
.LBB5_107:
	v_mov_b32_e32 v23, 0
.LBB5_108:
	v_cmp_gt_i64_e64 s3, s[30:31], 0
	v_cmp_eq_u32_e64 s2, 0, v18
	s_delay_alu instid0(VALU_DEP_1) | instskip(NEXT) | instid1(SALU_CYCLE_1)
	s_and_b32 s4, s2, s3
	s_and_saveexec_b32 s3, s4
	s_cbranch_execz .LBB5_114
; %bb.109:
	v_dual_mov_b32 v2, v16 :: v_dual_mov_b32 v3, v17
	s_mov_b32 s4, exec_lo
	v_cmpx_le_u64_e64 s[30:31], v[16:17]
	s_cbranch_execz .LBB5_111
; %bb.110:
	v_cvt_f32_u32_e32 v2, s30
	s_sub_i32 s5, 0, s30
	s_delay_alu instid0(VALU_DEP_1) | instskip(SKIP_2) | instid1(VALU_DEP_1)
	v_rcp_iflag_f32_e32 v2, v2
	s_waitcnt_depctr 0xfff
	v_mul_f32_e32 v2, 0x4f7ffffe, v2
	v_cvt_u32_f32_e32 v2, v2
	s_delay_alu instid0(VALU_DEP_1) | instskip(NEXT) | instid1(VALU_DEP_1)
	v_mul_lo_u32 v3, s5, v2
	v_mul_hi_u32 v3, v2, v3
	s_delay_alu instid0(VALU_DEP_1) | instskip(NEXT) | instid1(VALU_DEP_1)
	v_add_nc_u32_e32 v2, v2, v3
	v_mul_hi_u32 v2, v16, v2
	s_delay_alu instid0(VALU_DEP_1) | instskip(NEXT) | instid1(VALU_DEP_1)
	v_mul_lo_u32 v2, v2, s30
	v_sub_nc_u32_e32 v2, v16, v2
	s_delay_alu instid0(VALU_DEP_1) | instskip(SKIP_1) | instid1(VALU_DEP_2)
	v_subrev_nc_u32_e32 v3, s30, v2
	v_cmp_le_u32_e32 vcc_lo, s30, v2
	v_cndmask_b32_e32 v2, v2, v3, vcc_lo
	s_delay_alu instid0(VALU_DEP_1) | instskip(SKIP_1) | instid1(VALU_DEP_2)
	v_subrev_nc_u32_e32 v3, s30, v2
	v_cmp_le_u32_e32 vcc_lo, s30, v2
	v_dual_cndmask_b32 v2, v2, v3 :: v_dual_mov_b32 v3, 0
.LBB5_111:
	s_or_b32 exec_lo, exec_lo, s4
	v_cvt_f64_f32_e32 v[4:5], v23
	s_load_b64 s[0:1], s[0:1], 0x40
	s_waitcnt lgkmcnt(0)
	s_delay_alu instid0(VALU_DEP_1) | instskip(SKIP_1) | instid1(VALU_DEP_2)
	v_div_scale_f64 v[6:7], null, s[0:1], s[0:1], v[4:5]
	v_div_scale_f64 v[12:13], vcc_lo, v[4:5], s[0:1], v[4:5]
	v_rcp_f64_e32 v[8:9], v[6:7]
	s_waitcnt_depctr 0xfff
	v_fma_f64 v[10:11], -v[6:7], v[8:9], 1.0
	s_delay_alu instid0(VALU_DEP_1) | instskip(NEXT) | instid1(VALU_DEP_1)
	v_fma_f64 v[8:9], v[8:9], v[10:11], v[8:9]
	v_fma_f64 v[10:11], -v[6:7], v[8:9], 1.0
	s_delay_alu instid0(VALU_DEP_1) | instskip(NEXT) | instid1(VALU_DEP_1)
	v_fma_f64 v[8:9], v[8:9], v[10:11], v[8:9]
	v_mul_f64 v[10:11], v[12:13], v[8:9]
	s_delay_alu instid0(VALU_DEP_1) | instskip(NEXT) | instid1(VALU_DEP_1)
	v_fma_f64 v[6:7], -v[6:7], v[10:11], v[12:13]
	v_div_fmas_f64 v[6:7], v[6:7], v[8:9], v[10:11]
	v_add_nc_u32_e32 v11, 0x100, v2
	s_delay_alu instid0(VALU_DEP_2) | instskip(SKIP_2) | instid1(VALU_DEP_2)
	v_div_fixup_f64 v[4:5], v[6:7], s[0:1], v[4:5]
	v_mad_u64_u32 v[6:7], null, s26, v16, s[18:19]
	s_ashr_i32 s0, s26, 31
	v_cvt_f32_f64_e32 v8, v[4:5]
	s_delay_alu instid0(VALU_DEP_2) | instskip(NEXT) | instid1(VALU_DEP_1)
	v_mov_b32_e32 v4, v7
	v_mad_u64_u32 v[9:10], null, s0, v16, v[4:5]
	v_cmp_lt_u64_e64 s0, s[30:31], 2
	s_delay_alu instid0(VALU_DEP_2) | instskip(NEXT) | instid1(VALU_DEP_1)
	v_mov_b32_e32 v7, v9
	v_lshlrev_b64 v[4:5], 2, v[6:7]
	s_delay_alu instid0(VALU_DEP_1) | instskip(NEXT) | instid1(VALU_DEP_2)
	v_add_co_u32 v6, vcc_lo, s22, v4
	v_add_co_ci_u32_e32 v7, vcc_lo, s23, v5, vcc_lo
	v_add_co_u32 v9, vcc_lo, s20, v4
	v_add_co_ci_u32_e32 v10, vcc_lo, s21, v5, vcc_lo
	s_and_b32 vcc_lo, exec_lo, s0
	global_store_b32 v[6:7], v11, off
	global_store_b32 v[9:10], v8, off
	s_cbranch_vccnz .LBB5_114
; %bb.112:
	v_add_co_u32 v6, vcc_lo, v4, 4
	v_add_co_ci_u32_e32 v7, vcc_lo, 0, v5, vcc_lo
	s_mov_b64 s[0:1], 1
	s_delay_alu instid0(VALU_DEP_2) | instskip(NEXT) | instid1(VALU_DEP_2)
	v_add_co_u32 v4, vcc_lo, s20, v6
	v_add_co_ci_u32_e32 v5, vcc_lo, s21, v7, vcc_lo
	v_add_co_u32 v6, vcc_lo, s22, v6
	v_add_co_ci_u32_e32 v7, vcc_lo, s23, v7, vcc_lo
	.p2align	6
.LBB5_113:                              ; =>This Inner Loop Header: Depth=1
	s_delay_alu instid0(VALU_DEP_2)
	v_add_co_u32 v9, vcc_lo, v2, 1
	v_add_co_ci_u32_e32 v10, vcc_lo, 0, v3, vcc_lo
	v_add_nc_u32_e32 v2, 0x101, v2
	s_add_u32 s0, s0, 1
	global_store_b32 v[4:5], v8, off
	v_add_co_u32 v4, vcc_lo, v4, 4
	s_addc_u32 s1, s1, 0
	v_add_co_ci_u32_e32 v5, vcc_lo, 0, v5, vcc_lo
	v_cmp_lt_u64_e64 s4, s[0:1], s[30:31]
	global_store_b32 v[6:7], v2, off
	v_add_co_u32 v6, vcc_lo, v6, 4
	v_dual_mov_b32 v2, v9 :: v_dual_mov_b32 v3, v10
	v_add_co_ci_u32_e32 v7, vcc_lo, 0, v7, vcc_lo
	s_and_b32 vcc_lo, exec_lo, s4
	s_cbranch_vccnz .LBB5_113
.LBB5_114:
	s_or_b32 exec_lo, exec_lo, s3
	v_cmp_gt_i64_e64 s3, s[28:29], 0
	s_mov_b64 s[0:1], 0
	s_waitcnt lgkmcnt(0)
	s_waitcnt_vscnt null, 0x0
	s_barrier
	buffer_gl0_inv
	s_and_b32 s2, s2, s3
	s_delay_alu instid0(SALU_CYCLE_1)
	s_and_b32 exec_lo, exec_lo, s2
	s_cbranch_execz .LBB5_121
; %bb.115:
	v_mad_u64_u32 v[2:3], null, s26, v16, 0
	s_ashr_i32 s2, s26, 31
	s_delay_alu instid0(VALU_DEP_1) | instid1(SALU_CYCLE_1)
	v_mad_u64_u32 v[4:5], null, s2, v16, v[3:4]
	v_cmp_lt_u64_e64 s2, s[28:29], 8
	s_delay_alu instid0(VALU_DEP_2) | instskip(NEXT) | instid1(VALU_DEP_1)
	v_mov_b32_e32 v3, v4
	v_lshlrev_b64 v[2:3], 2, v[2:3]
	s_delay_alu instid0(VALU_DEP_1) | instskip(NEXT) | instid1(VALU_DEP_2)
	v_add_co_u32 v2, vcc_lo, s20, v2
	v_add_co_ci_u32_e32 v3, vcc_lo, s21, v3, vcc_lo
	s_and_b32 vcc_lo, exec_lo, s2
	s_cbranch_vccnz .LBB5_118
; %bb.116:
	s_and_b32 s1, s29, 0x7fffffff
	s_and_b32 s0, s28, -8
	s_mov_b64 s[2:3], 0
	s_mov_b64 s[4:5], s[0:1]
.LBB5_117:                              ; =>This Inner Loop Header: Depth=1
	v_add_co_u32 v4, vcc_lo, v0, s2
	v_add_co_ci_u32_e32 v5, vcc_lo, s3, v1, vcc_lo
	flat_load_b32 v8, v[4:5]
	s_waitcnt vmcnt(0) lgkmcnt(0)
	v_div_scale_f32 v6, null, v23, v23, v8
	v_div_scale_f32 v10, vcc_lo, v8, v23, v8
	s_delay_alu instid0(VALU_DEP_2) | instskip(SKIP_2) | instid1(VALU_DEP_1)
	v_rcp_f32_e32 v7, v6
	s_waitcnt_depctr 0xfff
	v_fma_f32 v9, -v6, v7, 1.0
	v_fmac_f32_e32 v7, v9, v7
	s_delay_alu instid0(VALU_DEP_1) | instskip(NEXT) | instid1(VALU_DEP_1)
	v_mul_f32_e32 v9, v10, v7
	v_fma_f32 v11, -v6, v9, v10
	s_delay_alu instid0(VALU_DEP_1) | instskip(NEXT) | instid1(VALU_DEP_1)
	v_fmac_f32_e32 v9, v11, v7
	v_fma_f32 v6, -v6, v9, v10
	s_delay_alu instid0(VALU_DEP_1) | instskip(SKIP_2) | instid1(VALU_DEP_3)
	v_div_fmas_f32 v9, v6, v7, v9
	v_add_co_u32 v6, vcc_lo, v2, s2
	v_add_co_ci_u32_e32 v7, vcc_lo, s3, v3, vcc_lo
	v_div_fixup_f32 v8, v9, v23, v8
	s_add_u32 s2, s2, 32
	s_addc_u32 s3, s3, 0
	s_add_u32 s4, s4, -8
	s_addc_u32 s5, s5, -1
	global_store_b32 v[6:7], v8, off
	flat_load_b32 v8, v[4:5] offset:4
	s_cmp_lg_u64 s[4:5], 0
	s_waitcnt vmcnt(0) lgkmcnt(0)
	v_div_scale_f32 v9, null, v23, v23, v8
	v_div_scale_f32 v12, vcc_lo, v8, v23, v8
	s_delay_alu instid0(VALU_DEP_2) | instskip(SKIP_2) | instid1(VALU_DEP_1)
	v_rcp_f32_e32 v10, v9
	s_waitcnt_depctr 0xfff
	v_fma_f32 v11, -v9, v10, 1.0
	v_fmac_f32_e32 v10, v11, v10
	s_delay_alu instid0(VALU_DEP_1) | instskip(NEXT) | instid1(VALU_DEP_1)
	v_mul_f32_e32 v11, v12, v10
	v_fma_f32 v13, -v9, v11, v12
	s_delay_alu instid0(VALU_DEP_1) | instskip(NEXT) | instid1(VALU_DEP_1)
	v_fmac_f32_e32 v11, v13, v10
	v_fma_f32 v9, -v9, v11, v12
	s_delay_alu instid0(VALU_DEP_1) | instskip(NEXT) | instid1(VALU_DEP_1)
	v_div_fmas_f32 v9, v9, v10, v11
	v_div_fixup_f32 v8, v9, v23, v8
	global_store_b32 v[6:7], v8, off offset:4
	flat_load_b32 v8, v[4:5] offset:8
	s_waitcnt vmcnt(0) lgkmcnt(0)
	v_div_scale_f32 v9, null, v23, v23, v8
	v_div_scale_f32 v12, vcc_lo, v8, v23, v8
	s_delay_alu instid0(VALU_DEP_2) | instskip(SKIP_2) | instid1(VALU_DEP_1)
	v_rcp_f32_e32 v10, v9
	s_waitcnt_depctr 0xfff
	v_fma_f32 v11, -v9, v10, 1.0
	v_fmac_f32_e32 v10, v11, v10
	s_delay_alu instid0(VALU_DEP_1) | instskip(NEXT) | instid1(VALU_DEP_1)
	v_mul_f32_e32 v11, v12, v10
	v_fma_f32 v13, -v9, v11, v12
	s_delay_alu instid0(VALU_DEP_1) | instskip(NEXT) | instid1(VALU_DEP_1)
	v_fmac_f32_e32 v11, v13, v10
	v_fma_f32 v9, -v9, v11, v12
	s_delay_alu instid0(VALU_DEP_1) | instskip(NEXT) | instid1(VALU_DEP_1)
	v_div_fmas_f32 v9, v9, v10, v11
	v_div_fixup_f32 v8, v9, v23, v8
	global_store_b32 v[6:7], v8, off offset:8
	flat_load_b32 v8, v[4:5] offset:12
	;; [unrolled: 19-line block ×6, first 2 shown]
	s_waitcnt vmcnt(0) lgkmcnt(0)
	v_div_scale_f32 v5, null, v23, v23, v4
	v_div_scale_f32 v10, vcc_lo, v4, v23, v4
	s_delay_alu instid0(VALU_DEP_2) | instskip(SKIP_2) | instid1(VALU_DEP_1)
	v_rcp_f32_e32 v8, v5
	s_waitcnt_depctr 0xfff
	v_fma_f32 v9, -v5, v8, 1.0
	v_fmac_f32_e32 v8, v9, v8
	s_delay_alu instid0(VALU_DEP_1) | instskip(NEXT) | instid1(VALU_DEP_1)
	v_mul_f32_e32 v9, v10, v8
	v_fma_f32 v11, -v5, v9, v10
	s_delay_alu instid0(VALU_DEP_1) | instskip(NEXT) | instid1(VALU_DEP_1)
	v_fmac_f32_e32 v9, v11, v8
	v_fma_f32 v5, -v5, v9, v10
	s_delay_alu instid0(VALU_DEP_1) | instskip(NEXT) | instid1(VALU_DEP_1)
	v_div_fmas_f32 v5, v5, v8, v9
	v_div_fixup_f32 v4, v5, v23, v4
	global_store_b32 v[6:7], v4, off offset:28
	s_cbranch_scc1 .LBB5_117
.LBB5_118:
	s_and_b32 s2, s28, 7
	s_mov_b32 s3, 0
	s_delay_alu instid0(SALU_CYCLE_1)
	s_cmp_eq_u64 s[2:3], 0
	s_cbranch_scc1 .LBB5_121
; %bb.119:
	s_mov_b64 s[4:5], s[2:3]
	s_set_inst_prefetch_distance 0x1
	.p2align	6
.LBB5_120:                              ; =>This Inner Loop Header: Depth=1
	s_lshl_b64 s[6:7], s[0:1], 2
	s_add_i32 s2, s0, 1
	v_add_co_u32 v4, vcc_lo, v0, s6
	v_add_co_ci_u32_e32 v5, vcc_lo, s7, v1, vcc_lo
	s_add_u32 s4, s4, -1
	s_addc_u32 s5, s5, -1
	s_mov_b64 s[0:1], s[2:3]
	flat_load_b32 v6, v[4:5]
	s_cmp_lg_u64 s[4:5], 0
	s_waitcnt vmcnt(0) lgkmcnt(0)
	v_div_scale_f32 v4, null, v23, v23, v6
	v_div_scale_f32 v8, vcc_lo, v6, v23, v6
	s_delay_alu instid0(VALU_DEP_2) | instskip(SKIP_2) | instid1(VALU_DEP_1)
	v_rcp_f32_e32 v5, v4
	s_waitcnt_depctr 0xfff
	v_fma_f32 v7, -v4, v5, 1.0
	v_fmac_f32_e32 v5, v7, v5
	s_delay_alu instid0(VALU_DEP_1) | instskip(NEXT) | instid1(VALU_DEP_1)
	v_mul_f32_e32 v7, v8, v5
	v_fma_f32 v9, -v4, v7, v8
	s_delay_alu instid0(VALU_DEP_1) | instskip(NEXT) | instid1(VALU_DEP_1)
	v_fmac_f32_e32 v7, v9, v5
	v_fma_f32 v4, -v4, v7, v8
	s_delay_alu instid0(VALU_DEP_1) | instskip(SKIP_2) | instid1(VALU_DEP_3)
	v_div_fmas_f32 v7, v4, v5, v7
	v_add_co_u32 v4, vcc_lo, v2, s6
	v_add_co_ci_u32_e32 v5, vcc_lo, s7, v3, vcc_lo
	v_div_fixup_f32 v6, v7, v23, v6
	global_store_b32 v[4:5], v6, off
	s_cbranch_scc1 .LBB5_120
.LBB5_121:
	s_set_inst_prefetch_distance 0x2
	s_nop 0
	s_sendmsg sendmsg(MSG_DEALLOC_VGPRS)
	s_endpgm
	.section	.rodata,"a",@progbits
	.p2align	6, 0x0
	.amdhsa_kernel _Z21moe_fused_gate_kernelIDF16_Li16ELi256ELi16ELi1EEvPvS0_PfPilllldi
		.amdhsa_group_segment_fixed_size 0
		.amdhsa_private_segment_fixed_size 0
		.amdhsa_kernarg_size 76
		.amdhsa_user_sgpr_count 15
		.amdhsa_user_sgpr_dispatch_ptr 0
		.amdhsa_user_sgpr_queue_ptr 0
		.amdhsa_user_sgpr_kernarg_segment_ptr 1
		.amdhsa_user_sgpr_dispatch_id 0
		.amdhsa_user_sgpr_private_segment_size 0
		.amdhsa_wavefront_size32 1
		.amdhsa_uses_dynamic_stack 0
		.amdhsa_enable_private_segment 0
		.amdhsa_system_sgpr_workgroup_id_x 1
		.amdhsa_system_sgpr_workgroup_id_y 0
		.amdhsa_system_sgpr_workgroup_id_z 0
		.amdhsa_system_sgpr_workgroup_info 0
		.amdhsa_system_vgpr_workitem_id 1
		.amdhsa_next_free_vgpr 49
		.amdhsa_next_free_sgpr 34
		.amdhsa_reserve_vcc 1
		.amdhsa_float_round_mode_32 0
		.amdhsa_float_round_mode_16_64 0
		.amdhsa_float_denorm_mode_32 3
		.amdhsa_float_denorm_mode_16_64 3
		.amdhsa_dx10_clamp 1
		.amdhsa_ieee_mode 1
		.amdhsa_fp16_overflow 0
		.amdhsa_workgroup_processor_mode 1
		.amdhsa_memory_ordered 1
		.amdhsa_forward_progress 0
		.amdhsa_shared_vgpr_count 0
		.amdhsa_exception_fp_ieee_invalid_op 0
		.amdhsa_exception_fp_denorm_src 0
		.amdhsa_exception_fp_ieee_div_zero 0
		.amdhsa_exception_fp_ieee_overflow 0
		.amdhsa_exception_fp_ieee_underflow 0
		.amdhsa_exception_fp_ieee_inexact 0
		.amdhsa_exception_int_div_zero 0
	.end_amdhsa_kernel
	.section	.text._Z21moe_fused_gate_kernelIDF16_Li16ELi256ELi16ELi1EEvPvS0_PfPilllldi,"axG",@progbits,_Z21moe_fused_gate_kernelIDF16_Li16ELi256ELi16ELi1EEvPvS0_PfPilllldi,comdat
.Lfunc_end5:
	.size	_Z21moe_fused_gate_kernelIDF16_Li16ELi256ELi16ELi1EEvPvS0_PfPilllldi, .Lfunc_end5-_Z21moe_fused_gate_kernelIDF16_Li16ELi256ELi16ELi1EEvPvS0_PfPilllldi
                                        ; -- End function
	.section	.AMDGPU.csdata,"",@progbits
; Kernel info:
; codeLenInByte = 8904
; NumSgprs: 36
; NumVgprs: 49
; ScratchSize: 0
; MemoryBound: 0
; FloatMode: 240
; IeeeMode: 1
; LDSByteSize: 0 bytes/workgroup (compile time only)
; SGPRBlocks: 4
; VGPRBlocks: 6
; NumSGPRsForWavesPerEU: 36
; NumVGPRsForWavesPerEU: 49
; Occupancy: 16
; WaveLimiterHint : 0
; COMPUTE_PGM_RSRC2:SCRATCH_EN: 0
; COMPUTE_PGM_RSRC2:USER_SGPR: 15
; COMPUTE_PGM_RSRC2:TRAP_HANDLER: 0
; COMPUTE_PGM_RSRC2:TGID_X_EN: 1
; COMPUTE_PGM_RSRC2:TGID_Y_EN: 0
; COMPUTE_PGM_RSRC2:TGID_Z_EN: 0
; COMPUTE_PGM_RSRC2:TIDIG_COMP_CNT: 1
	.section	.text._Z21moe_fused_gate_kernelIfLi16ELi256ELi16ELi1EEvPvS0_PfPilllldi,"axG",@progbits,_Z21moe_fused_gate_kernelIfLi16ELi256ELi16ELi1EEvPvS0_PfPilllldi,comdat
	.protected	_Z21moe_fused_gate_kernelIfLi16ELi256ELi16ELi1EEvPvS0_PfPilllldi ; -- Begin function _Z21moe_fused_gate_kernelIfLi16ELi256ELi16ELi1EEvPvS0_PfPilllldi
	.globl	_Z21moe_fused_gate_kernelIfLi16ELi256ELi16ELi1EEvPvS0_PfPilllldi
	.p2align	8
	.type	_Z21moe_fused_gate_kernelIfLi16ELi256ELi16ELi1EEvPvS0_PfPilllldi,@function
_Z21moe_fused_gate_kernelIfLi16ELi256ELi16ELi1EEvPvS0_PfPilllldi: ; @_Z21moe_fused_gate_kernelIfLi16ELi256ELi16ELi1EEvPvS0_PfPilllldi
; %bb.0:
	s_load_b512 s[16:31], s[0:1], 0x0
	v_bfe_u32 v1, v0, 10, 10
	v_dual_mov_b32 v35, 0 :: v_dual_and_b32 v0, 0x3ff, v0
	s_mov_b32 s2, exec_lo
	s_delay_alu instid0(VALU_DEP_2) | instskip(NEXT) | instid1(VALU_DEP_2)
	v_add_nc_u32_e32 v1, s15, v1
	v_lshrrev_b32_e32 v37, 4, v0
	s_delay_alu instid0(VALU_DEP_3) | instskip(NEXT) | instid1(VALU_DEP_2)
	v_mov_b32_e32 v33, v35
	v_lshl_add_u32 v32, v1, 1, v37
	s_waitcnt lgkmcnt(0)
	s_delay_alu instid0(VALU_DEP_1)
	v_cmpx_gt_i64_e64 s[24:25], v[32:33]
	s_cbranch_execz .LBB6_121
; %bb.1:
	v_and_b32_e32 v34, 15, v0
	v_lshlrev_b64 v[0:1], 10, v[32:33]
	s_mov_b32 s2, exec_lo
	s_delay_alu instid0(VALU_DEP_2) | instskip(NEXT) | instid1(VALU_DEP_2)
	v_lshlrev_b32_e32 v12, 6, v34
	v_add_co_u32 v0, vcc_lo, s16, v0
	s_delay_alu instid0(VALU_DEP_3) | instskip(NEXT) | instid1(VALU_DEP_2)
	v_add_co_ci_u32_e32 v1, vcc_lo, s17, v1, vcc_lo
	v_add_co_u32 v0, vcc_lo, v0, v12
	s_delay_alu instid0(VALU_DEP_2)
	v_add_co_ci_u32_e32 v1, vcc_lo, 0, v1, vcc_lo
	s_clause 0x3
	global_load_b128 v[24:27], v[0:1], off offset:16
	global_load_b128 v[28:31], v[0:1], off
	global_load_b128 v[16:19], v[0:1], off offset:48
	global_load_b128 v[20:23], v[0:1], off offset:32
	s_clause 0x3
	global_load_b128 v[0:3], v12, s[18:19] offset:48
	global_load_b128 v[4:7], v12, s[18:19] offset:32
	;; [unrolled: 1-line block ×3, first 2 shown]
	global_load_b128 v[12:15], v12, s[18:19]
	s_waitcnt vmcnt(6)
	v_cmpx_o_f32_e32 v28, v28
	s_cbranch_execz .LBB6_3
; %bb.2:
	v_mul_f32_e32 v35, 0xbfb8aa3b, v28
	v_cmp_nlt_f32_e32 vcc_lo, 0x42ce8ed0, v28
	s_delay_alu instid0(VALU_DEP_2) | instskip(SKIP_1) | instid1(VALU_DEP_1)
	v_rndne_f32_e32 v36, v35
	v_fma_f32 v38, 0xbfb8aa3b, v28, -v35
	v_dual_sub_f32 v35, v35, v36 :: v_dual_fmamk_f32 v38, v28, 0xb2a5705f, v38
	v_cvt_i32_f32_e32 v36, v36
	s_delay_alu instid0(VALU_DEP_2) | instskip(NEXT) | instid1(VALU_DEP_1)
	v_add_f32_e32 v35, v35, v38
	v_exp_f32_e32 v35, v35
	s_waitcnt_depctr 0xfff
	v_ldexp_f32 v35, v35, v36
	s_delay_alu instid0(VALU_DEP_1) | instskip(SKIP_1) | instid1(VALU_DEP_2)
	v_cndmask_b32_e32 v35, 0, v35, vcc_lo
	v_cmp_ngt_f32_e32 vcc_lo, 0xc2b17218, v28
	v_cndmask_b32_e32 v28, 0x7f800000, v35, vcc_lo
	s_delay_alu instid0(VALU_DEP_1) | instskip(NEXT) | instid1(VALU_DEP_1)
	v_add_f32_e32 v28, 1.0, v28
	v_div_scale_f32 v35, null, v28, v28, 1.0
	s_delay_alu instid0(VALU_DEP_1) | instskip(SKIP_2) | instid1(VALU_DEP_1)
	v_rcp_f32_e32 v36, v35
	s_waitcnt_depctr 0xfff
	v_fma_f32 v38, -v35, v36, 1.0
	v_fmac_f32_e32 v36, v38, v36
	v_div_scale_f32 v38, vcc_lo, 1.0, v28, 1.0
	s_delay_alu instid0(VALU_DEP_1) | instskip(NEXT) | instid1(VALU_DEP_1)
	v_mul_f32_e32 v39, v38, v36
	v_fma_f32 v40, -v35, v39, v38
	s_delay_alu instid0(VALU_DEP_1) | instskip(NEXT) | instid1(VALU_DEP_1)
	v_fmac_f32_e32 v39, v40, v36
	v_fma_f32 v35, -v35, v39, v38
	s_delay_alu instid0(VALU_DEP_1) | instskip(NEXT) | instid1(VALU_DEP_1)
	v_div_fmas_f32 v35, v35, v36, v39
	v_div_fixup_f32 v35, v35, v28, 1.0
.LBB6_3:
	s_or_b32 exec_lo, exec_lo, s2
	v_mov_b32_e32 v28, 0
	v_mov_b32_e32 v36, 0
	s_mov_b32 s2, exec_lo
	v_cmpx_o_f32_e32 v29, v29
	s_cbranch_execz .LBB6_5
; %bb.4:
	v_mul_f32_e32 v36, 0xbfb8aa3b, v29
	v_cmp_nlt_f32_e32 vcc_lo, 0x42ce8ed0, v29
	s_delay_alu instid0(VALU_DEP_2) | instskip(SKIP_1) | instid1(VALU_DEP_1)
	v_rndne_f32_e32 v38, v36
	v_fma_f32 v39, 0xbfb8aa3b, v29, -v36
	v_dual_sub_f32 v36, v36, v38 :: v_dual_fmamk_f32 v39, v29, 0xb2a5705f, v39
	v_cvt_i32_f32_e32 v38, v38
	s_delay_alu instid0(VALU_DEP_2) | instskip(NEXT) | instid1(VALU_DEP_1)
	v_add_f32_e32 v36, v36, v39
	v_exp_f32_e32 v36, v36
	s_waitcnt_depctr 0xfff
	v_ldexp_f32 v36, v36, v38
	s_delay_alu instid0(VALU_DEP_1) | instskip(SKIP_1) | instid1(VALU_DEP_2)
	v_cndmask_b32_e32 v36, 0, v36, vcc_lo
	v_cmp_ngt_f32_e32 vcc_lo, 0xc2b17218, v29
	v_cndmask_b32_e32 v29, 0x7f800000, v36, vcc_lo
	s_delay_alu instid0(VALU_DEP_1) | instskip(NEXT) | instid1(VALU_DEP_1)
	v_add_f32_e32 v29, 1.0, v29
	v_div_scale_f32 v36, null, v29, v29, 1.0
	s_delay_alu instid0(VALU_DEP_1) | instskip(SKIP_2) | instid1(VALU_DEP_1)
	v_rcp_f32_e32 v38, v36
	s_waitcnt_depctr 0xfff
	v_fma_f32 v39, -v36, v38, 1.0
	v_fmac_f32_e32 v38, v39, v38
	v_div_scale_f32 v39, vcc_lo, 1.0, v29, 1.0
	s_delay_alu instid0(VALU_DEP_1) | instskip(NEXT) | instid1(VALU_DEP_1)
	v_mul_f32_e32 v40, v39, v38
	v_fma_f32 v41, -v36, v40, v39
	s_delay_alu instid0(VALU_DEP_1) | instskip(NEXT) | instid1(VALU_DEP_1)
	v_fmac_f32_e32 v40, v41, v38
	v_fma_f32 v36, -v36, v40, v39
	s_delay_alu instid0(VALU_DEP_1) | instskip(NEXT) | instid1(VALU_DEP_1)
	v_div_fmas_f32 v36, v36, v38, v40
	v_div_fixup_f32 v36, v36, v29, 1.0
.LBB6_5:
	s_or_b32 exec_lo, exec_lo, s2
	s_delay_alu instid0(SALU_CYCLE_1)
	s_mov_b32 s2, exec_lo
	v_cmpx_o_f32_e32 v30, v30
	s_cbranch_execz .LBB6_7
; %bb.6:
	v_mul_f32_e32 v28, 0xbfb8aa3b, v30
	v_cmp_nlt_f32_e32 vcc_lo, 0x42ce8ed0, v30
	s_delay_alu instid0(VALU_DEP_2) | instskip(SKIP_1) | instid1(VALU_DEP_2)
	v_rndne_f32_e32 v29, v28
	v_fma_f32 v38, 0xbfb8aa3b, v30, -v28
	v_sub_f32_e32 v28, v28, v29
	s_delay_alu instid0(VALU_DEP_2) | instskip(SKIP_1) | instid1(VALU_DEP_2)
	v_fmamk_f32 v38, v30, 0xb2a5705f, v38
	v_cvt_i32_f32_e32 v29, v29
	v_add_f32_e32 v28, v28, v38
	s_delay_alu instid0(VALU_DEP_1) | instskip(SKIP_2) | instid1(VALU_DEP_1)
	v_exp_f32_e32 v28, v28
	s_waitcnt_depctr 0xfff
	v_ldexp_f32 v28, v28, v29
	v_cndmask_b32_e32 v28, 0, v28, vcc_lo
	v_cmp_ngt_f32_e32 vcc_lo, 0xc2b17218, v30
	s_delay_alu instid0(VALU_DEP_2) | instskip(NEXT) | instid1(VALU_DEP_1)
	v_cndmask_b32_e32 v28, 0x7f800000, v28, vcc_lo
	v_add_f32_e32 v28, 1.0, v28
	s_delay_alu instid0(VALU_DEP_1) | instskip(NEXT) | instid1(VALU_DEP_1)
	v_div_scale_f32 v29, null, v28, v28, 1.0
	v_rcp_f32_e32 v30, v29
	s_waitcnt_depctr 0xfff
	v_fma_f32 v38, -v29, v30, 1.0
	s_delay_alu instid0(VALU_DEP_1) | instskip(SKIP_1) | instid1(VALU_DEP_1)
	v_fmac_f32_e32 v30, v38, v30
	v_div_scale_f32 v38, vcc_lo, 1.0, v28, 1.0
	v_mul_f32_e32 v39, v38, v30
	s_delay_alu instid0(VALU_DEP_1) | instskip(NEXT) | instid1(VALU_DEP_1)
	v_fma_f32 v40, -v29, v39, v38
	v_fmac_f32_e32 v39, v40, v30
	s_delay_alu instid0(VALU_DEP_1) | instskip(NEXT) | instid1(VALU_DEP_1)
	v_fma_f32 v29, -v29, v39, v38
	v_div_fmas_f32 v29, v29, v30, v39
	s_delay_alu instid0(VALU_DEP_1)
	v_div_fixup_f32 v28, v29, v28, 1.0
.LBB6_7:
	s_or_b32 exec_lo, exec_lo, s2
	v_dual_mov_b32 v29, 0 :: v_dual_mov_b32 v30, 0
	s_mov_b32 s2, exec_lo
	v_cmpx_o_f32_e32 v31, v31
	s_cbranch_execz .LBB6_9
; %bb.8:
	v_mul_f32_e32 v30, 0xbfb8aa3b, v31
	v_cmp_nlt_f32_e32 vcc_lo, 0x42ce8ed0, v31
	s_delay_alu instid0(VALU_DEP_2) | instskip(SKIP_1) | instid1(VALU_DEP_1)
	v_rndne_f32_e32 v38, v30
	v_fma_f32 v39, 0xbfb8aa3b, v31, -v30
	v_dual_sub_f32 v30, v30, v38 :: v_dual_fmamk_f32 v39, v31, 0xb2a5705f, v39
	v_cvt_i32_f32_e32 v38, v38
	s_delay_alu instid0(VALU_DEP_2) | instskip(NEXT) | instid1(VALU_DEP_1)
	v_add_f32_e32 v30, v30, v39
	v_exp_f32_e32 v30, v30
	s_waitcnt_depctr 0xfff
	v_ldexp_f32 v30, v30, v38
	s_delay_alu instid0(VALU_DEP_1) | instskip(SKIP_1) | instid1(VALU_DEP_2)
	v_cndmask_b32_e32 v30, 0, v30, vcc_lo
	v_cmp_ngt_f32_e32 vcc_lo, 0xc2b17218, v31
	v_cndmask_b32_e32 v30, 0x7f800000, v30, vcc_lo
	s_delay_alu instid0(VALU_DEP_1) | instskip(NEXT) | instid1(VALU_DEP_1)
	v_add_f32_e32 v30, 1.0, v30
	v_div_scale_f32 v31, null, v30, v30, 1.0
	s_delay_alu instid0(VALU_DEP_1) | instskip(SKIP_2) | instid1(VALU_DEP_1)
	v_rcp_f32_e32 v38, v31
	s_waitcnt_depctr 0xfff
	v_fma_f32 v39, -v31, v38, 1.0
	v_fmac_f32_e32 v38, v39, v38
	v_div_scale_f32 v39, vcc_lo, 1.0, v30, 1.0
	s_delay_alu instid0(VALU_DEP_1) | instskip(NEXT) | instid1(VALU_DEP_1)
	v_mul_f32_e32 v40, v39, v38
	v_fma_f32 v41, -v31, v40, v39
	s_delay_alu instid0(VALU_DEP_1) | instskip(NEXT) | instid1(VALU_DEP_1)
	v_fmac_f32_e32 v40, v41, v38
	v_fma_f32 v31, -v31, v40, v39
	s_delay_alu instid0(VALU_DEP_1) | instskip(NEXT) | instid1(VALU_DEP_1)
	v_div_fmas_f32 v31, v31, v38, v40
	v_div_fixup_f32 v30, v31, v30, 1.0
.LBB6_9:
	s_or_b32 exec_lo, exec_lo, s2
	s_delay_alu instid0(SALU_CYCLE_1)
	s_mov_b32 s2, exec_lo
	v_cmpx_o_f32_e32 v24, v24
	s_cbranch_execz .LBB6_11
; %bb.10:
	v_mul_f32_e32 v29, 0xbfb8aa3b, v24
	v_cmp_nlt_f32_e32 vcc_lo, 0x42ce8ed0, v24
	s_delay_alu instid0(VALU_DEP_2) | instskip(SKIP_1) | instid1(VALU_DEP_1)
	v_rndne_f32_e32 v31, v29
	v_fma_f32 v38, 0xbfb8aa3b, v24, -v29
	v_dual_sub_f32 v29, v29, v31 :: v_dual_fmamk_f32 v38, v24, 0xb2a5705f, v38
	v_cvt_i32_f32_e32 v31, v31
	s_delay_alu instid0(VALU_DEP_2) | instskip(NEXT) | instid1(VALU_DEP_1)
	v_add_f32_e32 v29, v29, v38
	v_exp_f32_e32 v29, v29
	s_waitcnt_depctr 0xfff
	v_ldexp_f32 v29, v29, v31
	s_delay_alu instid0(VALU_DEP_1) | instskip(SKIP_1) | instid1(VALU_DEP_2)
	v_cndmask_b32_e32 v29, 0, v29, vcc_lo
	v_cmp_ngt_f32_e32 vcc_lo, 0xc2b17218, v24
	v_cndmask_b32_e32 v24, 0x7f800000, v29, vcc_lo
	s_delay_alu instid0(VALU_DEP_1) | instskip(NEXT) | instid1(VALU_DEP_1)
	v_add_f32_e32 v24, 1.0, v24
	v_div_scale_f32 v29, null, v24, v24, 1.0
	s_delay_alu instid0(VALU_DEP_1) | instskip(SKIP_2) | instid1(VALU_DEP_1)
	v_rcp_f32_e32 v31, v29
	s_waitcnt_depctr 0xfff
	v_fma_f32 v38, -v29, v31, 1.0
	v_fmac_f32_e32 v31, v38, v31
	v_div_scale_f32 v38, vcc_lo, 1.0, v24, 1.0
	s_delay_alu instid0(VALU_DEP_1) | instskip(NEXT) | instid1(VALU_DEP_1)
	v_mul_f32_e32 v39, v38, v31
	v_fma_f32 v40, -v29, v39, v38
	s_delay_alu instid0(VALU_DEP_1) | instskip(NEXT) | instid1(VALU_DEP_1)
	v_fmac_f32_e32 v39, v40, v31
	v_fma_f32 v29, -v29, v39, v38
	s_delay_alu instid0(VALU_DEP_1) | instskip(NEXT) | instid1(VALU_DEP_1)
	v_div_fmas_f32 v29, v29, v31, v39
	v_div_fixup_f32 v29, v29, v24, 1.0
.LBB6_11:
	s_or_b32 exec_lo, exec_lo, s2
	v_dual_mov_b32 v24, 0 :: v_dual_mov_b32 v31, 0
	s_mov_b32 s2, exec_lo
	v_cmpx_o_f32_e32 v25, v25
	s_cbranch_execz .LBB6_13
; %bb.12:
	v_mul_f32_e32 v31, 0xbfb8aa3b, v25
	v_cmp_nlt_f32_e32 vcc_lo, 0x42ce8ed0, v25
	s_delay_alu instid0(VALU_DEP_2) | instskip(SKIP_1) | instid1(VALU_DEP_2)
	v_rndne_f32_e32 v38, v31
	v_fma_f32 v39, 0xbfb8aa3b, v25, -v31
	v_sub_f32_e32 v31, v31, v38
	s_delay_alu instid0(VALU_DEP_2) | instskip(SKIP_1) | instid1(VALU_DEP_2)
	v_fmamk_f32 v39, v25, 0xb2a5705f, v39
	v_cvt_i32_f32_e32 v38, v38
	v_add_f32_e32 v31, v31, v39
	s_delay_alu instid0(VALU_DEP_1) | instskip(SKIP_2) | instid1(VALU_DEP_1)
	v_exp_f32_e32 v31, v31
	s_waitcnt_depctr 0xfff
	v_ldexp_f32 v31, v31, v38
	v_cndmask_b32_e32 v31, 0, v31, vcc_lo
	v_cmp_ngt_f32_e32 vcc_lo, 0xc2b17218, v25
	s_delay_alu instid0(VALU_DEP_2) | instskip(NEXT) | instid1(VALU_DEP_1)
	v_cndmask_b32_e32 v25, 0x7f800000, v31, vcc_lo
	v_add_f32_e32 v25, 1.0, v25
	s_delay_alu instid0(VALU_DEP_1) | instskip(NEXT) | instid1(VALU_DEP_1)
	v_div_scale_f32 v31, null, v25, v25, 1.0
	v_rcp_f32_e32 v38, v31
	s_waitcnt_depctr 0xfff
	v_fma_f32 v39, -v31, v38, 1.0
	s_delay_alu instid0(VALU_DEP_1) | instskip(SKIP_1) | instid1(VALU_DEP_1)
	v_fmac_f32_e32 v38, v39, v38
	v_div_scale_f32 v39, vcc_lo, 1.0, v25, 1.0
	v_mul_f32_e32 v40, v39, v38
	s_delay_alu instid0(VALU_DEP_1) | instskip(NEXT) | instid1(VALU_DEP_1)
	v_fma_f32 v41, -v31, v40, v39
	v_fmac_f32_e32 v40, v41, v38
	s_delay_alu instid0(VALU_DEP_1) | instskip(NEXT) | instid1(VALU_DEP_1)
	v_fma_f32 v31, -v31, v40, v39
	v_div_fmas_f32 v31, v31, v38, v40
	s_delay_alu instid0(VALU_DEP_1)
	v_div_fixup_f32 v31, v31, v25, 1.0
.LBB6_13:
	s_or_b32 exec_lo, exec_lo, s2
	s_delay_alu instid0(SALU_CYCLE_1)
	s_mov_b32 s2, exec_lo
	v_cmpx_o_f32_e32 v26, v26
	s_cbranch_execz .LBB6_15
; %bb.14:
	v_mul_f32_e32 v24, 0xbfb8aa3b, v26
	v_cmp_nlt_f32_e32 vcc_lo, 0x42ce8ed0, v26
	s_delay_alu instid0(VALU_DEP_2) | instskip(SKIP_1) | instid1(VALU_DEP_2)
	v_rndne_f32_e32 v25, v24
	v_fma_f32 v38, 0xbfb8aa3b, v26, -v24
	v_sub_f32_e32 v24, v24, v25
	s_delay_alu instid0(VALU_DEP_2) | instskip(SKIP_1) | instid1(VALU_DEP_2)
	v_fmamk_f32 v38, v26, 0xb2a5705f, v38
	v_cvt_i32_f32_e32 v25, v25
	v_add_f32_e32 v24, v24, v38
	s_delay_alu instid0(VALU_DEP_1) | instskip(SKIP_2) | instid1(VALU_DEP_1)
	v_exp_f32_e32 v24, v24
	s_waitcnt_depctr 0xfff
	v_ldexp_f32 v24, v24, v25
	v_cndmask_b32_e32 v24, 0, v24, vcc_lo
	v_cmp_ngt_f32_e32 vcc_lo, 0xc2b17218, v26
	s_delay_alu instid0(VALU_DEP_2) | instskip(NEXT) | instid1(VALU_DEP_1)
	v_cndmask_b32_e32 v24, 0x7f800000, v24, vcc_lo
	v_add_f32_e32 v24, 1.0, v24
	s_delay_alu instid0(VALU_DEP_1) | instskip(NEXT) | instid1(VALU_DEP_1)
	v_div_scale_f32 v25, null, v24, v24, 1.0
	v_rcp_f32_e32 v26, v25
	s_waitcnt_depctr 0xfff
	v_fma_f32 v38, -v25, v26, 1.0
	s_delay_alu instid0(VALU_DEP_1) | instskip(SKIP_1) | instid1(VALU_DEP_1)
	v_fmac_f32_e32 v26, v38, v26
	v_div_scale_f32 v38, vcc_lo, 1.0, v24, 1.0
	v_mul_f32_e32 v39, v38, v26
	s_delay_alu instid0(VALU_DEP_1) | instskip(NEXT) | instid1(VALU_DEP_1)
	v_fma_f32 v40, -v25, v39, v38
	v_fmac_f32_e32 v39, v40, v26
	s_delay_alu instid0(VALU_DEP_1) | instskip(NEXT) | instid1(VALU_DEP_1)
	v_fma_f32 v25, -v25, v39, v38
	v_div_fmas_f32 v25, v25, v26, v39
	s_delay_alu instid0(VALU_DEP_1)
	v_div_fixup_f32 v24, v25, v24, 1.0
.LBB6_15:
	s_or_b32 exec_lo, exec_lo, s2
	v_dual_mov_b32 v25, 0 :: v_dual_mov_b32 v26, 0
	s_mov_b32 s2, exec_lo
	v_cmpx_o_f32_e32 v27, v27
	s_cbranch_execz .LBB6_17
; %bb.16:
	v_mul_f32_e32 v26, 0xbfb8aa3b, v27
	v_cmp_nlt_f32_e32 vcc_lo, 0x42ce8ed0, v27
	s_delay_alu instid0(VALU_DEP_2) | instskip(SKIP_1) | instid1(VALU_DEP_1)
	v_rndne_f32_e32 v38, v26
	v_fma_f32 v39, 0xbfb8aa3b, v27, -v26
	v_dual_sub_f32 v26, v26, v38 :: v_dual_fmamk_f32 v39, v27, 0xb2a5705f, v39
	v_cvt_i32_f32_e32 v38, v38
	s_delay_alu instid0(VALU_DEP_2) | instskip(NEXT) | instid1(VALU_DEP_1)
	v_add_f32_e32 v26, v26, v39
	v_exp_f32_e32 v26, v26
	s_waitcnt_depctr 0xfff
	v_ldexp_f32 v26, v26, v38
	s_delay_alu instid0(VALU_DEP_1) | instskip(SKIP_1) | instid1(VALU_DEP_2)
	v_cndmask_b32_e32 v26, 0, v26, vcc_lo
	v_cmp_ngt_f32_e32 vcc_lo, 0xc2b17218, v27
	v_cndmask_b32_e32 v26, 0x7f800000, v26, vcc_lo
	s_delay_alu instid0(VALU_DEP_1) | instskip(NEXT) | instid1(VALU_DEP_1)
	v_add_f32_e32 v26, 1.0, v26
	v_div_scale_f32 v27, null, v26, v26, 1.0
	s_delay_alu instid0(VALU_DEP_1) | instskip(SKIP_2) | instid1(VALU_DEP_1)
	v_rcp_f32_e32 v38, v27
	s_waitcnt_depctr 0xfff
	v_fma_f32 v39, -v27, v38, 1.0
	v_fmac_f32_e32 v38, v39, v38
	v_div_scale_f32 v39, vcc_lo, 1.0, v26, 1.0
	s_delay_alu instid0(VALU_DEP_1) | instskip(NEXT) | instid1(VALU_DEP_1)
	v_mul_f32_e32 v40, v39, v38
	v_fma_f32 v41, -v27, v40, v39
	s_delay_alu instid0(VALU_DEP_1) | instskip(NEXT) | instid1(VALU_DEP_1)
	v_fmac_f32_e32 v40, v41, v38
	v_fma_f32 v27, -v27, v40, v39
	s_delay_alu instid0(VALU_DEP_1) | instskip(NEXT) | instid1(VALU_DEP_1)
	v_div_fmas_f32 v27, v27, v38, v40
	v_div_fixup_f32 v26, v27, v26, 1.0
.LBB6_17:
	s_or_b32 exec_lo, exec_lo, s2
	s_delay_alu instid0(SALU_CYCLE_1)
	s_mov_b32 s2, exec_lo
	s_waitcnt vmcnt(4)
	v_cmpx_o_f32_e32 v20, v20
	s_cbranch_execz .LBB6_19
; %bb.18:
	v_mul_f32_e32 v25, 0xbfb8aa3b, v20
	v_cmp_nlt_f32_e32 vcc_lo, 0x42ce8ed0, v20
	s_delay_alu instid0(VALU_DEP_2) | instskip(SKIP_1) | instid1(VALU_DEP_1)
	v_rndne_f32_e32 v27, v25
	v_fma_f32 v38, 0xbfb8aa3b, v20, -v25
	v_dual_sub_f32 v25, v25, v27 :: v_dual_fmamk_f32 v38, v20, 0xb2a5705f, v38
	v_cvt_i32_f32_e32 v27, v27
	s_delay_alu instid0(VALU_DEP_2) | instskip(NEXT) | instid1(VALU_DEP_1)
	v_add_f32_e32 v25, v25, v38
	v_exp_f32_e32 v25, v25
	s_waitcnt_depctr 0xfff
	v_ldexp_f32 v25, v25, v27
	s_delay_alu instid0(VALU_DEP_1) | instskip(SKIP_1) | instid1(VALU_DEP_2)
	v_cndmask_b32_e32 v25, 0, v25, vcc_lo
	v_cmp_ngt_f32_e32 vcc_lo, 0xc2b17218, v20
	v_cndmask_b32_e32 v20, 0x7f800000, v25, vcc_lo
	s_delay_alu instid0(VALU_DEP_1) | instskip(NEXT) | instid1(VALU_DEP_1)
	v_add_f32_e32 v20, 1.0, v20
	v_div_scale_f32 v25, null, v20, v20, 1.0
	s_delay_alu instid0(VALU_DEP_1) | instskip(SKIP_2) | instid1(VALU_DEP_1)
	v_rcp_f32_e32 v27, v25
	s_waitcnt_depctr 0xfff
	v_fma_f32 v38, -v25, v27, 1.0
	v_fmac_f32_e32 v27, v38, v27
	v_div_scale_f32 v38, vcc_lo, 1.0, v20, 1.0
	s_delay_alu instid0(VALU_DEP_1) | instskip(NEXT) | instid1(VALU_DEP_1)
	v_mul_f32_e32 v39, v38, v27
	v_fma_f32 v40, -v25, v39, v38
	s_delay_alu instid0(VALU_DEP_1) | instskip(NEXT) | instid1(VALU_DEP_1)
	v_fmac_f32_e32 v39, v40, v27
	v_fma_f32 v25, -v25, v39, v38
	s_delay_alu instid0(VALU_DEP_1) | instskip(NEXT) | instid1(VALU_DEP_1)
	v_div_fmas_f32 v25, v25, v27, v39
	v_div_fixup_f32 v25, v25, v20, 1.0
.LBB6_19:
	s_or_b32 exec_lo, exec_lo, s2
	v_dual_mov_b32 v20, 0 :: v_dual_mov_b32 v27, 0
	s_mov_b32 s2, exec_lo
	v_cmpx_o_f32_e32 v21, v21
	s_cbranch_execz .LBB6_21
; %bb.20:
	v_mul_f32_e32 v27, 0xbfb8aa3b, v21
	v_cmp_nlt_f32_e32 vcc_lo, 0x42ce8ed0, v21
	s_delay_alu instid0(VALU_DEP_2) | instskip(SKIP_1) | instid1(VALU_DEP_2)
	v_rndne_f32_e32 v38, v27
	v_fma_f32 v39, 0xbfb8aa3b, v21, -v27
	v_sub_f32_e32 v27, v27, v38
	s_delay_alu instid0(VALU_DEP_2) | instskip(SKIP_1) | instid1(VALU_DEP_2)
	v_fmamk_f32 v39, v21, 0xb2a5705f, v39
	v_cvt_i32_f32_e32 v38, v38
	v_add_f32_e32 v27, v27, v39
	s_delay_alu instid0(VALU_DEP_1) | instskip(SKIP_2) | instid1(VALU_DEP_1)
	v_exp_f32_e32 v27, v27
	s_waitcnt_depctr 0xfff
	v_ldexp_f32 v27, v27, v38
	v_cndmask_b32_e32 v27, 0, v27, vcc_lo
	v_cmp_ngt_f32_e32 vcc_lo, 0xc2b17218, v21
	s_delay_alu instid0(VALU_DEP_2) | instskip(NEXT) | instid1(VALU_DEP_1)
	v_cndmask_b32_e32 v21, 0x7f800000, v27, vcc_lo
	v_add_f32_e32 v21, 1.0, v21
	s_delay_alu instid0(VALU_DEP_1) | instskip(NEXT) | instid1(VALU_DEP_1)
	v_div_scale_f32 v27, null, v21, v21, 1.0
	v_rcp_f32_e32 v38, v27
	s_waitcnt_depctr 0xfff
	v_fma_f32 v39, -v27, v38, 1.0
	s_delay_alu instid0(VALU_DEP_1) | instskip(SKIP_1) | instid1(VALU_DEP_1)
	v_fmac_f32_e32 v38, v39, v38
	v_div_scale_f32 v39, vcc_lo, 1.0, v21, 1.0
	v_mul_f32_e32 v40, v39, v38
	s_delay_alu instid0(VALU_DEP_1) | instskip(NEXT) | instid1(VALU_DEP_1)
	v_fma_f32 v41, -v27, v40, v39
	v_fmac_f32_e32 v40, v41, v38
	s_delay_alu instid0(VALU_DEP_1) | instskip(NEXT) | instid1(VALU_DEP_1)
	v_fma_f32 v27, -v27, v40, v39
	v_div_fmas_f32 v27, v27, v38, v40
	s_delay_alu instid0(VALU_DEP_1)
	v_div_fixup_f32 v27, v27, v21, 1.0
.LBB6_21:
	s_or_b32 exec_lo, exec_lo, s2
	s_delay_alu instid0(SALU_CYCLE_1)
	s_mov_b32 s2, exec_lo
	v_cmpx_o_f32_e32 v22, v22
	s_cbranch_execz .LBB6_23
; %bb.22:
	v_mul_f32_e32 v20, 0xbfb8aa3b, v22
	v_cmp_nlt_f32_e32 vcc_lo, 0x42ce8ed0, v22
	s_delay_alu instid0(VALU_DEP_2) | instskip(SKIP_1) | instid1(VALU_DEP_2)
	v_rndne_f32_e32 v21, v20
	v_fma_f32 v38, 0xbfb8aa3b, v22, -v20
	v_sub_f32_e32 v20, v20, v21
	s_delay_alu instid0(VALU_DEP_2) | instskip(SKIP_1) | instid1(VALU_DEP_2)
	v_fmamk_f32 v38, v22, 0xb2a5705f, v38
	v_cvt_i32_f32_e32 v21, v21
	v_add_f32_e32 v20, v20, v38
	s_delay_alu instid0(VALU_DEP_1) | instskip(SKIP_2) | instid1(VALU_DEP_1)
	v_exp_f32_e32 v20, v20
	s_waitcnt_depctr 0xfff
	v_ldexp_f32 v20, v20, v21
	v_cndmask_b32_e32 v20, 0, v20, vcc_lo
	v_cmp_ngt_f32_e32 vcc_lo, 0xc2b17218, v22
	s_delay_alu instid0(VALU_DEP_2) | instskip(NEXT) | instid1(VALU_DEP_1)
	v_cndmask_b32_e32 v20, 0x7f800000, v20, vcc_lo
	v_add_f32_e32 v20, 1.0, v20
	s_delay_alu instid0(VALU_DEP_1) | instskip(NEXT) | instid1(VALU_DEP_1)
	v_div_scale_f32 v21, null, v20, v20, 1.0
	v_rcp_f32_e32 v22, v21
	s_waitcnt_depctr 0xfff
	v_fma_f32 v38, -v21, v22, 1.0
	s_delay_alu instid0(VALU_DEP_1) | instskip(SKIP_1) | instid1(VALU_DEP_1)
	v_fmac_f32_e32 v22, v38, v22
	v_div_scale_f32 v38, vcc_lo, 1.0, v20, 1.0
	v_mul_f32_e32 v39, v38, v22
	s_delay_alu instid0(VALU_DEP_1) | instskip(NEXT) | instid1(VALU_DEP_1)
	v_fma_f32 v40, -v21, v39, v38
	v_fmac_f32_e32 v39, v40, v22
	s_delay_alu instid0(VALU_DEP_1) | instskip(NEXT) | instid1(VALU_DEP_1)
	v_fma_f32 v21, -v21, v39, v38
	v_div_fmas_f32 v21, v21, v22, v39
	s_delay_alu instid0(VALU_DEP_1)
	v_div_fixup_f32 v20, v21, v20, 1.0
.LBB6_23:
	s_or_b32 exec_lo, exec_lo, s2
	v_dual_mov_b32 v21, 0 :: v_dual_mov_b32 v22, 0
	s_mov_b32 s2, exec_lo
	v_cmpx_o_f32_e32 v23, v23
	s_cbranch_execz .LBB6_25
; %bb.24:
	v_mul_f32_e32 v22, 0xbfb8aa3b, v23
	v_cmp_nlt_f32_e32 vcc_lo, 0x42ce8ed0, v23
	s_delay_alu instid0(VALU_DEP_2) | instskip(SKIP_1) | instid1(VALU_DEP_1)
	v_rndne_f32_e32 v38, v22
	v_fma_f32 v39, 0xbfb8aa3b, v23, -v22
	v_dual_sub_f32 v22, v22, v38 :: v_dual_fmamk_f32 v39, v23, 0xb2a5705f, v39
	v_cvt_i32_f32_e32 v38, v38
	s_delay_alu instid0(VALU_DEP_2) | instskip(NEXT) | instid1(VALU_DEP_1)
	v_add_f32_e32 v22, v22, v39
	v_exp_f32_e32 v22, v22
	s_waitcnt_depctr 0xfff
	v_ldexp_f32 v22, v22, v38
	s_delay_alu instid0(VALU_DEP_1) | instskip(SKIP_1) | instid1(VALU_DEP_2)
	v_cndmask_b32_e32 v22, 0, v22, vcc_lo
	v_cmp_ngt_f32_e32 vcc_lo, 0xc2b17218, v23
	v_cndmask_b32_e32 v22, 0x7f800000, v22, vcc_lo
	s_delay_alu instid0(VALU_DEP_1) | instskip(NEXT) | instid1(VALU_DEP_1)
	v_add_f32_e32 v22, 1.0, v22
	v_div_scale_f32 v23, null, v22, v22, 1.0
	s_delay_alu instid0(VALU_DEP_1) | instskip(SKIP_2) | instid1(VALU_DEP_1)
	v_rcp_f32_e32 v38, v23
	s_waitcnt_depctr 0xfff
	v_fma_f32 v39, -v23, v38, 1.0
	v_fmac_f32_e32 v38, v39, v38
	v_div_scale_f32 v39, vcc_lo, 1.0, v22, 1.0
	s_delay_alu instid0(VALU_DEP_1) | instskip(NEXT) | instid1(VALU_DEP_1)
	v_mul_f32_e32 v40, v39, v38
	v_fma_f32 v41, -v23, v40, v39
	s_delay_alu instid0(VALU_DEP_1) | instskip(NEXT) | instid1(VALU_DEP_1)
	v_fmac_f32_e32 v40, v41, v38
	v_fma_f32 v23, -v23, v40, v39
	s_delay_alu instid0(VALU_DEP_1) | instskip(NEXT) | instid1(VALU_DEP_1)
	v_div_fmas_f32 v23, v23, v38, v40
	v_div_fixup_f32 v22, v23, v22, 1.0
.LBB6_25:
	s_or_b32 exec_lo, exec_lo, s2
	s_delay_alu instid0(SALU_CYCLE_1)
	s_mov_b32 s2, exec_lo
	v_cmpx_o_f32_e32 v16, v16
	s_cbranch_execz .LBB6_27
; %bb.26:
	v_mul_f32_e32 v21, 0xbfb8aa3b, v16
	v_cmp_nlt_f32_e32 vcc_lo, 0x42ce8ed0, v16
	s_delay_alu instid0(VALU_DEP_2) | instskip(SKIP_1) | instid1(VALU_DEP_1)
	v_rndne_f32_e32 v23, v21
	v_fma_f32 v38, 0xbfb8aa3b, v16, -v21
	v_dual_sub_f32 v21, v21, v23 :: v_dual_fmamk_f32 v38, v16, 0xb2a5705f, v38
	v_cvt_i32_f32_e32 v23, v23
	s_delay_alu instid0(VALU_DEP_2) | instskip(NEXT) | instid1(VALU_DEP_1)
	v_add_f32_e32 v21, v21, v38
	v_exp_f32_e32 v21, v21
	s_waitcnt_depctr 0xfff
	v_ldexp_f32 v21, v21, v23
	s_delay_alu instid0(VALU_DEP_1) | instskip(SKIP_1) | instid1(VALU_DEP_2)
	v_cndmask_b32_e32 v21, 0, v21, vcc_lo
	v_cmp_ngt_f32_e32 vcc_lo, 0xc2b17218, v16
	v_cndmask_b32_e32 v16, 0x7f800000, v21, vcc_lo
	s_delay_alu instid0(VALU_DEP_1) | instskip(NEXT) | instid1(VALU_DEP_1)
	v_add_f32_e32 v16, 1.0, v16
	v_div_scale_f32 v21, null, v16, v16, 1.0
	s_delay_alu instid0(VALU_DEP_1) | instskip(SKIP_2) | instid1(VALU_DEP_1)
	v_rcp_f32_e32 v23, v21
	s_waitcnt_depctr 0xfff
	v_fma_f32 v38, -v21, v23, 1.0
	v_fmac_f32_e32 v23, v38, v23
	v_div_scale_f32 v38, vcc_lo, 1.0, v16, 1.0
	s_delay_alu instid0(VALU_DEP_1) | instskip(NEXT) | instid1(VALU_DEP_1)
	v_mul_f32_e32 v39, v38, v23
	v_fma_f32 v40, -v21, v39, v38
	s_delay_alu instid0(VALU_DEP_1) | instskip(NEXT) | instid1(VALU_DEP_1)
	v_fmac_f32_e32 v39, v40, v23
	v_fma_f32 v21, -v21, v39, v38
	s_delay_alu instid0(VALU_DEP_1) | instskip(NEXT) | instid1(VALU_DEP_1)
	v_div_fmas_f32 v21, v21, v23, v39
	v_div_fixup_f32 v21, v21, v16, 1.0
.LBB6_27:
	s_or_b32 exec_lo, exec_lo, s2
	v_dual_mov_b32 v16, 0 :: v_dual_mov_b32 v23, 0
	s_mov_b32 s2, exec_lo
	v_cmpx_o_f32_e32 v17, v17
	s_cbranch_execz .LBB6_29
; %bb.28:
	v_mul_f32_e32 v23, 0xbfb8aa3b, v17
	v_cmp_nlt_f32_e32 vcc_lo, 0x42ce8ed0, v17
	s_delay_alu instid0(VALU_DEP_2) | instskip(SKIP_1) | instid1(VALU_DEP_2)
	v_rndne_f32_e32 v38, v23
	v_fma_f32 v39, 0xbfb8aa3b, v17, -v23
	v_sub_f32_e32 v23, v23, v38
	s_delay_alu instid0(VALU_DEP_2) | instskip(SKIP_1) | instid1(VALU_DEP_2)
	v_fmamk_f32 v39, v17, 0xb2a5705f, v39
	v_cvt_i32_f32_e32 v38, v38
	v_add_f32_e32 v23, v23, v39
	s_delay_alu instid0(VALU_DEP_1) | instskip(SKIP_2) | instid1(VALU_DEP_1)
	v_exp_f32_e32 v23, v23
	s_waitcnt_depctr 0xfff
	v_ldexp_f32 v23, v23, v38
	v_cndmask_b32_e32 v23, 0, v23, vcc_lo
	v_cmp_ngt_f32_e32 vcc_lo, 0xc2b17218, v17
	s_delay_alu instid0(VALU_DEP_2) | instskip(NEXT) | instid1(VALU_DEP_1)
	v_cndmask_b32_e32 v17, 0x7f800000, v23, vcc_lo
	v_add_f32_e32 v17, 1.0, v17
	s_delay_alu instid0(VALU_DEP_1) | instskip(NEXT) | instid1(VALU_DEP_1)
	v_div_scale_f32 v23, null, v17, v17, 1.0
	v_rcp_f32_e32 v38, v23
	s_waitcnt_depctr 0xfff
	v_fma_f32 v39, -v23, v38, 1.0
	s_delay_alu instid0(VALU_DEP_1) | instskip(SKIP_1) | instid1(VALU_DEP_1)
	v_fmac_f32_e32 v38, v39, v38
	v_div_scale_f32 v39, vcc_lo, 1.0, v17, 1.0
	v_mul_f32_e32 v40, v39, v38
	s_delay_alu instid0(VALU_DEP_1) | instskip(NEXT) | instid1(VALU_DEP_1)
	v_fma_f32 v41, -v23, v40, v39
	v_fmac_f32_e32 v40, v41, v38
	s_delay_alu instid0(VALU_DEP_1) | instskip(NEXT) | instid1(VALU_DEP_1)
	v_fma_f32 v23, -v23, v40, v39
	v_div_fmas_f32 v23, v23, v38, v40
	s_delay_alu instid0(VALU_DEP_1)
	v_div_fixup_f32 v23, v23, v17, 1.0
.LBB6_29:
	s_or_b32 exec_lo, exec_lo, s2
	s_delay_alu instid0(SALU_CYCLE_1)
	s_mov_b32 s2, exec_lo
	v_cmpx_o_f32_e32 v18, v18
	s_cbranch_execz .LBB6_31
; %bb.30:
	v_mul_f32_e32 v16, 0xbfb8aa3b, v18
	v_cmp_nlt_f32_e32 vcc_lo, 0x42ce8ed0, v18
	s_delay_alu instid0(VALU_DEP_2) | instskip(SKIP_1) | instid1(VALU_DEP_2)
	v_rndne_f32_e32 v17, v16
	v_fma_f32 v38, 0xbfb8aa3b, v18, -v16
	v_sub_f32_e32 v16, v16, v17
	s_delay_alu instid0(VALU_DEP_2) | instskip(SKIP_1) | instid1(VALU_DEP_2)
	v_fmamk_f32 v38, v18, 0xb2a5705f, v38
	v_cvt_i32_f32_e32 v17, v17
	v_add_f32_e32 v16, v16, v38
	s_delay_alu instid0(VALU_DEP_1) | instskip(SKIP_2) | instid1(VALU_DEP_1)
	v_exp_f32_e32 v16, v16
	s_waitcnt_depctr 0xfff
	v_ldexp_f32 v16, v16, v17
	v_cndmask_b32_e32 v16, 0, v16, vcc_lo
	v_cmp_ngt_f32_e32 vcc_lo, 0xc2b17218, v18
	s_delay_alu instid0(VALU_DEP_2) | instskip(NEXT) | instid1(VALU_DEP_1)
	v_cndmask_b32_e32 v16, 0x7f800000, v16, vcc_lo
	v_add_f32_e32 v16, 1.0, v16
	s_delay_alu instid0(VALU_DEP_1) | instskip(NEXT) | instid1(VALU_DEP_1)
	v_div_scale_f32 v17, null, v16, v16, 1.0
	v_rcp_f32_e32 v18, v17
	s_waitcnt_depctr 0xfff
	v_fma_f32 v38, -v17, v18, 1.0
	s_delay_alu instid0(VALU_DEP_1) | instskip(SKIP_1) | instid1(VALU_DEP_1)
	v_fmac_f32_e32 v18, v38, v18
	v_div_scale_f32 v38, vcc_lo, 1.0, v16, 1.0
	v_mul_f32_e32 v39, v38, v18
	s_delay_alu instid0(VALU_DEP_1) | instskip(NEXT) | instid1(VALU_DEP_1)
	v_fma_f32 v40, -v17, v39, v38
	v_fmac_f32_e32 v39, v40, v18
	s_delay_alu instid0(VALU_DEP_1) | instskip(NEXT) | instid1(VALU_DEP_1)
	v_fma_f32 v17, -v17, v39, v38
	v_div_fmas_f32 v17, v17, v18, v39
	s_delay_alu instid0(VALU_DEP_1)
	v_div_fixup_f32 v16, v17, v16, 1.0
.LBB6_31:
	s_or_b32 exec_lo, exec_lo, s2
	v_mov_b32_e32 v17, 0
	s_mov_b32 s2, exec_lo
	v_cmpx_o_f32_e32 v19, v19
	s_cbranch_execz .LBB6_33
; %bb.32:
	v_mul_f32_e32 v17, 0xbfb8aa3b, v19
	v_cmp_nlt_f32_e32 vcc_lo, 0x42ce8ed0, v19
	s_delay_alu instid0(VALU_DEP_2) | instskip(SKIP_1) | instid1(VALU_DEP_1)
	v_rndne_f32_e32 v18, v17
	v_fma_f32 v38, 0xbfb8aa3b, v19, -v17
	v_dual_sub_f32 v17, v17, v18 :: v_dual_fmamk_f32 v38, v19, 0xb2a5705f, v38
	v_cvt_i32_f32_e32 v18, v18
	s_delay_alu instid0(VALU_DEP_2) | instskip(NEXT) | instid1(VALU_DEP_1)
	v_add_f32_e32 v17, v17, v38
	v_exp_f32_e32 v17, v17
	s_waitcnt_depctr 0xfff
	v_ldexp_f32 v17, v17, v18
	s_delay_alu instid0(VALU_DEP_1) | instskip(SKIP_1) | instid1(VALU_DEP_2)
	v_cndmask_b32_e32 v17, 0, v17, vcc_lo
	v_cmp_ngt_f32_e32 vcc_lo, 0xc2b17218, v19
	v_cndmask_b32_e32 v17, 0x7f800000, v17, vcc_lo
	s_delay_alu instid0(VALU_DEP_1) | instskip(NEXT) | instid1(VALU_DEP_1)
	v_add_f32_e32 v17, 1.0, v17
	v_div_scale_f32 v18, null, v17, v17, 1.0
	s_delay_alu instid0(VALU_DEP_1) | instskip(SKIP_2) | instid1(VALU_DEP_1)
	v_rcp_f32_e32 v19, v18
	s_waitcnt_depctr 0xfff
	v_fma_f32 v38, -v18, v19, 1.0
	v_fmac_f32_e32 v19, v38, v19
	v_div_scale_f32 v38, vcc_lo, 1.0, v17, 1.0
	s_delay_alu instid0(VALU_DEP_1) | instskip(NEXT) | instid1(VALU_DEP_1)
	v_mul_f32_e32 v39, v38, v19
	v_fma_f32 v40, -v18, v39, v38
	s_delay_alu instid0(VALU_DEP_1) | instskip(NEXT) | instid1(VALU_DEP_1)
	v_fmac_f32_e32 v39, v40, v19
	v_fma_f32 v18, -v18, v39, v38
	s_delay_alu instid0(VALU_DEP_1) | instskip(NEXT) | instid1(VALU_DEP_1)
	v_div_fmas_f32 v18, v18, v19, v39
	v_div_fixup_f32 v17, v18, v17, 1.0
.LBB6_33:
	s_or_b32 exec_lo, exec_lo, s2
	s_waitcnt vmcnt(0)
	v_dual_add_f32 v12, v12, v35 :: v_dual_add_f32 v13, v13, v36
	s_mov_b32 s2, exec_lo
	s_delay_alu instid0(VALU_DEP_1) | instskip(NEXT) | instid1(VALU_DEP_1)
	v_dual_max_f32 v19, 0xff7fffff, v12 :: v_dual_mov_b32 v38, v13
	v_mov_b32_e32 v18, v19
	v_cmpx_ngt_f32_e32 v13, v19
	s_cbranch_execz .LBB6_37
; %bb.34:
	v_mov_b32_e32 v18, 0xff7fffff
	s_mov_b32 s3, exec_lo
	v_cmpx_lt_f32_e32 0xff7fffff, v13
; %bb.35:
	v_mov_b32_e32 v18, v13
; %bb.36:
	s_or_b32 exec_lo, exec_lo, s3
	v_mov_b32_e32 v38, v19
.LBB6_37:
	s_or_b32 exec_lo, exec_lo, s2
	v_add_f32_e32 v14, v14, v28
	s_delay_alu instid0(VALU_DEP_2) | instskip(SKIP_1) | instid1(VALU_DEP_2)
	v_mov_b32_e32 v19, v38
	s_mov_b32 s2, exec_lo
	v_mov_b32_e32 v39, v14
	v_cmpx_ngt_f32_e32 v14, v38
	s_cbranch_execz .LBB6_41
; %bb.38:
	s_mov_b32 s3, exec_lo
	v_cmpx_gt_f32_e32 v14, v18
; %bb.39:
	v_mov_b32_e32 v18, v14
; %bb.40:
	s_or_b32 exec_lo, exec_lo, s3
	s_delay_alu instid0(VALU_DEP_1)
	v_mov_b32_e32 v19, v18
	v_mov_b32_e32 v39, v38
.LBB6_41:
	s_or_b32 exec_lo, exec_lo, s2
	v_add_f32_e32 v15, v15, v30
	s_delay_alu instid0(VALU_DEP_2) | instskip(SKIP_1) | instid1(VALU_DEP_2)
	v_mov_b32_e32 v18, v39
	s_mov_b32 s2, exec_lo
	v_mov_b32_e32 v38, v15
	v_cmpx_ngt_f32_e32 v15, v39
	s_cbranch_execz .LBB6_45
; %bb.42:
	s_mov_b32 s3, exec_lo
	v_cmpx_gt_f32_e32 v15, v19
; %bb.43:
	v_mov_b32_e32 v19, v15
; %bb.44:
	s_or_b32 exec_lo, exec_lo, s3
	s_delay_alu instid0(VALU_DEP_1)
	v_mov_b32_e32 v18, v19
	v_mov_b32_e32 v38, v39
.LBB6_45:
	s_or_b32 exec_lo, exec_lo, s2
	s_delay_alu instid0(VALU_DEP_1) | instskip(SKIP_1) | instid1(VALU_DEP_1)
	v_dual_add_f32 v8, v8, v29 :: v_dual_mov_b32 v19, v38
	s_mov_b32 s2, exec_lo
	v_mov_b32_e32 v39, v8
	v_cmpx_ngt_f32_e32 v8, v38
	s_cbranch_execz .LBB6_49
; %bb.46:
	s_mov_b32 s3, exec_lo
	v_cmpx_gt_f32_e32 v8, v18
; %bb.47:
	v_mov_b32_e32 v18, v8
; %bb.48:
	s_or_b32 exec_lo, exec_lo, s3
	s_delay_alu instid0(VALU_DEP_1)
	v_mov_b32_e32 v19, v18
	v_mov_b32_e32 v39, v38
.LBB6_49:
	s_or_b32 exec_lo, exec_lo, s2
	s_delay_alu instid0(VALU_DEP_1) | instskip(SKIP_1) | instid1(VALU_DEP_1)
	v_dual_add_f32 v9, v9, v31 :: v_dual_mov_b32 v18, v39
	s_mov_b32 s2, exec_lo
	v_mov_b32_e32 v38, v9
	v_cmpx_ngt_f32_e32 v9, v39
	s_cbranch_execz .LBB6_53
; %bb.50:
	s_mov_b32 s3, exec_lo
	v_cmpx_gt_f32_e32 v9, v19
; %bb.51:
	v_mov_b32_e32 v19, v9
; %bb.52:
	s_or_b32 exec_lo, exec_lo, s3
	s_delay_alu instid0(VALU_DEP_1)
	v_mov_b32_e32 v18, v19
	v_mov_b32_e32 v38, v39
.LBB6_53:
	s_or_b32 exec_lo, exec_lo, s2
	v_add_f32_e32 v10, v10, v24
	s_delay_alu instid0(VALU_DEP_2) | instskip(SKIP_1) | instid1(VALU_DEP_2)
	v_mov_b32_e32 v19, v38
	s_mov_b32 s2, exec_lo
	v_mov_b32_e32 v39, v10
	v_cmpx_ngt_f32_e32 v10, v38
	s_cbranch_execz .LBB6_57
; %bb.54:
	s_mov_b32 s3, exec_lo
	v_cmpx_gt_f32_e32 v10, v18
; %bb.55:
	v_mov_b32_e32 v18, v10
; %bb.56:
	s_or_b32 exec_lo, exec_lo, s3
	s_delay_alu instid0(VALU_DEP_1)
	v_mov_b32_e32 v19, v18
	v_mov_b32_e32 v39, v38
.LBB6_57:
	s_or_b32 exec_lo, exec_lo, s2
	v_add_f32_e32 v18, v11, v26
	s_delay_alu instid0(VALU_DEP_2) | instskip(SKIP_1) | instid1(VALU_DEP_2)
	v_mov_b32_e32 v11, v39
	s_mov_b32 s2, exec_lo
	v_mov_b32_e32 v38, v18
	v_cmpx_ngt_f32_e32 v18, v39
	s_cbranch_execz .LBB6_61
; %bb.58:
	s_mov_b32 s3, exec_lo
	v_cmpx_gt_f32_e32 v18, v19
; %bb.59:
	v_mov_b32_e32 v19, v18
; %bb.60:
	s_or_b32 exec_lo, exec_lo, s3
	s_delay_alu instid0(VALU_DEP_1)
	v_mov_b32_e32 v11, v19
	v_mov_b32_e32 v38, v39
.LBB6_61:
	s_or_b32 exec_lo, exec_lo, s2
	s_delay_alu instid0(VALU_DEP_1) | instskip(SKIP_1) | instid1(VALU_DEP_1)
	v_dual_add_f32 v19, v4, v25 :: v_dual_mov_b32 v4, v38
	s_mov_b32 s2, exec_lo
	v_mov_b32_e32 v39, v19
	v_cmpx_ngt_f32_e32 v19, v38
	s_cbranch_execz .LBB6_65
; %bb.62:
	s_mov_b32 s3, exec_lo
	v_cmpx_gt_f32_e32 v19, v11
; %bb.63:
	v_mov_b32_e32 v11, v19
; %bb.64:
	s_or_b32 exec_lo, exec_lo, s3
	s_delay_alu instid0(VALU_DEP_1)
	v_dual_mov_b32 v4, v11 :: v_dual_mov_b32 v39, v38
.LBB6_65:
	s_or_b32 exec_lo, exec_lo, s2
	s_delay_alu instid0(VALU_DEP_1) | instskip(SKIP_1) | instid1(VALU_DEP_1)
	v_dual_add_f32 v38, v5, v27 :: v_dual_mov_b32 v5, v39
	s_mov_b32 s2, exec_lo
	v_mov_b32_e32 v11, v38
	v_cmpx_ngt_f32_e32 v38, v39
	s_cbranch_execz .LBB6_69
; %bb.66:
	s_mov_b32 s3, exec_lo
	v_cmpx_gt_f32_e32 v38, v4
; %bb.67:
	v_mov_b32_e32 v4, v38
; %bb.68:
	s_or_b32 exec_lo, exec_lo, s3
	s_delay_alu instid0(VALU_DEP_1)
	v_mov_b32_e32 v5, v4
	v_mov_b32_e32 v11, v39
.LBB6_69:
	s_or_b32 exec_lo, exec_lo, s2
	v_add_f32_e32 v6, v6, v20
	s_delay_alu instid0(VALU_DEP_2) | instskip(SKIP_1) | instid1(VALU_DEP_2)
	v_mov_b32_e32 v4, v11
	s_mov_b32 s2, exec_lo
	v_mov_b32_e32 v39, v6
	v_cmpx_ngt_f32_e32 v6, v11
	s_cbranch_execz .LBB6_73
; %bb.70:
	s_mov_b32 s3, exec_lo
	v_cmpx_gt_f32_e32 v6, v5
; %bb.71:
	v_mov_b32_e32 v5, v6
; %bb.72:
	s_or_b32 exec_lo, exec_lo, s3
	s_delay_alu instid0(VALU_DEP_1)
	v_dual_mov_b32 v4, v5 :: v_dual_mov_b32 v39, v11
.LBB6_73:
	s_or_b32 exec_lo, exec_lo, s2
	v_add_f32_e32 v7, v7, v22
	s_delay_alu instid0(VALU_DEP_2) | instskip(SKIP_1) | instid1(VALU_DEP_2)
	v_mov_b32_e32 v5, v39
	s_mov_b32 s2, exec_lo
	v_mov_b32_e32 v11, v7
	v_cmpx_ngt_f32_e32 v7, v39
	s_cbranch_execz .LBB6_77
; %bb.74:
	s_mov_b32 s3, exec_lo
	v_cmpx_gt_f32_e32 v7, v4
; %bb.75:
	v_mov_b32_e32 v4, v7
; %bb.76:
	s_or_b32 exec_lo, exec_lo, s3
	s_delay_alu instid0(VALU_DEP_1)
	v_mov_b32_e32 v5, v4
	v_mov_b32_e32 v11, v39
.LBB6_77:
	s_or_b32 exec_lo, exec_lo, s2
	s_delay_alu instid0(VALU_DEP_1) | instskip(SKIP_1) | instid1(VALU_DEP_1)
	v_dual_add_f32 v39, v0, v21 :: v_dual_mov_b32 v0, v11
	s_mov_b32 s2, exec_lo
	v_mov_b32_e32 v4, v39
	v_cmpx_ngt_f32_e32 v39, v11
	s_cbranch_execz .LBB6_81
; %bb.78:
	s_mov_b32 s3, exec_lo
	v_cmpx_gt_f32_e32 v39, v5
; %bb.79:
	v_mov_b32_e32 v5, v39
; %bb.80:
	s_or_b32 exec_lo, exec_lo, s3
	s_delay_alu instid0(VALU_DEP_1)
	v_mov_b32_e32 v0, v5
	v_mov_b32_e32 v4, v11
.LBB6_81:
	s_or_b32 exec_lo, exec_lo, s2
	s_delay_alu instid0(VALU_DEP_1) | instskip(SKIP_1) | instid1(VALU_DEP_1)
	v_dual_add_f32 v40, v1, v23 :: v_dual_mov_b32 v1, v4
	;; [unrolled: 18-line block ×4, first 2 shown]
	s_mov_b32 s2, exec_lo
	v_mov_b32_e32 v3, v42
	v_cmpx_ngt_f32_e32 v42, v2
	s_cbranch_execz .LBB6_93
; %bb.90:
	s_mov_b32 s3, exec_lo
	v_cmpx_gt_f32_e32 v42, v0
; %bb.91:
	v_mov_b32_e32 v0, v42
; %bb.92:
	s_or_b32 exec_lo, exec_lo, s3
	s_delay_alu instid0(VALU_DEP_1)
	v_mov_b32_e32 v1, v0
	v_mov_b32_e32 v3, v2
.LBB6_93:
	s_or_b32 exec_lo, exec_lo, s2
	v_cmp_lt_i64_e64 s2, s[26:27], 16
	v_lshlrev_b32_e32 v43, 4, v34
	s_delay_alu instid0(VALU_DEP_2)
	s_and_b32 vcc_lo, exec_lo, s2
	s_cbranch_vccz .LBB6_96
; %bb.94:
	v_add_f32_e32 v0, v1, v3
	s_sub_u32 s4, 16, s26
	s_subb_u32 s5, 0, s27
	s_mov_b64 s[6:7], 0
.LBB6_95:                               ; =>This Inner Loop Header: Depth=1
	s_delay_alu instid0(VALU_DEP_1) | instskip(SKIP_1) | instid1(VALU_DEP_2)
	v_mov_b32_dpp v1, v0 quad_perm:[1,0,3,2] row_mask:0xf bank_mask:0xf
	v_mov_b32_dpp v2, v43 quad_perm:[1,0,3,2] row_mask:0xf bank_mask:0xf
	v_cmp_eq_f32_e32 vcc_lo, v0, v1
	s_delay_alu instid0(VALU_DEP_2) | instskip(SKIP_1) | instid1(VALU_DEP_2)
	v_cmp_lt_i32_e64 s2, v43, v2
	v_cmp_lt_f32_e64 s3, v0, v1
	s_and_b32 s2, s2, vcc_lo
	s_delay_alu instid0(VALU_DEP_1) | instid1(SALU_CYCLE_1)
	s_or_b32 vcc_lo, s3, s2
	v_dual_cndmask_b32 v1, v1, v0 :: v_dual_cndmask_b32 v2, v2, v43
	s_delay_alu instid0(VALU_DEP_1) | instskip(NEXT) | instid1(VALU_DEP_2)
	v_mov_b32_dpp v3, v1 quad_perm:[2,3,0,1] row_mask:0xf bank_mask:0xf
	v_mov_b32_dpp v4, v2 quad_perm:[2,3,0,1] row_mask:0xf bank_mask:0xf
	s_delay_alu instid0(VALU_DEP_2) | instskip(NEXT) | instid1(VALU_DEP_2)
	v_cmp_eq_f32_e32 vcc_lo, v1, v3
	v_cmp_lt_i32_e64 s2, v2, v4
	s_delay_alu instid0(VALU_DEP_1) | instskip(SKIP_2) | instid1(VALU_DEP_2)
	s_and_b32 vcc_lo, vcc_lo, s2
	v_cmp_lt_f32_e64 s2, v1, v3
	v_cndmask_b32_e32 v5, v3, v1, vcc_lo
	s_or_b32 vcc_lo, s2, vcc_lo
	v_cndmask_b32_e32 v2, v4, v2, vcc_lo
	s_delay_alu instid0(VALU_DEP_2) | instskip(NEXT) | instid1(VALU_DEP_2)
	v_cndmask_b32_e64 v1, v5, v1, s2
	v_mov_b32_dpp v4, v2 row_half_mirror row_mask:0xf bank_mask:0xf
	s_delay_alu instid0(VALU_DEP_2) | instskip(NEXT) | instid1(VALU_DEP_2)
	v_mov_b32_dpp v3, v1 row_half_mirror row_mask:0xf bank_mask:0xf
	v_cmp_lt_i32_e64 s2, v2, v4
	s_delay_alu instid0(VALU_DEP_2) | instskip(NEXT) | instid1(VALU_DEP_2)
	v_cmp_eq_f32_e32 vcc_lo, v1, v3
	s_and_b32 vcc_lo, vcc_lo, s2
	v_cmp_lt_f32_e64 s2, v1, v3
	v_cndmask_b32_e32 v5, v3, v1, vcc_lo
	s_delay_alu instid0(VALU_DEP_2) | instskip(SKIP_2) | instid1(VALU_DEP_2)
	s_or_b32 vcc_lo, s2, vcc_lo
	s_add_u32 s6, s6, 1
	v_cndmask_b32_e32 v2, v4, v2, vcc_lo
	v_cndmask_b32_e64 v1, v5, v1, s2
	s_addc_u32 s7, s7, 0
	s_delay_alu instid0(SALU_CYCLE_1) | instskip(NEXT) | instid1(VALU_DEP_3)
	v_cmp_le_i64_e64 s2, s[4:5], s[6:7]
	v_mov_b32_dpp v3, v2 row_mirror row_mask:0xf bank_mask:0xf
	s_delay_alu instid0(VALU_DEP_3) | instskip(NEXT) | instid1(VALU_DEP_2)
	v_mov_b32_dpp v4, v1 row_mirror row_mask:0xf bank_mask:0xf
	v_min_i32_e32 v5, v2, v3
	s_delay_alu instid0(VALU_DEP_2) | instskip(NEXT) | instid1(VALU_DEP_2)
	v_cmp_eq_f32_e32 vcc_lo, v1, v4
	v_cndmask_b32_e32 v3, v3, v5, vcc_lo
	v_cmp_lt_f32_e32 vcc_lo, v1, v4
	s_delay_alu instid0(VALU_DEP_2) | instskip(NEXT) | instid1(VALU_DEP_1)
	v_cndmask_b32_e32 v1, v3, v2, vcc_lo
	v_ashrrev_i32_e32 v2, 31, v1
	s_delay_alu instid0(VALU_DEP_1) | instskip(NEXT) | instid1(VALU_DEP_1)
	v_lshrrev_b32_e32 v2, 28, v2
	v_add_nc_u32_e32 v1, v1, v2
	s_delay_alu instid0(VALU_DEP_1) | instskip(NEXT) | instid1(VALU_DEP_1)
	v_ashrrev_i32_e32 v1, 4, v1
	v_cmp_eq_u32_e32 vcc_lo, v34, v1
	v_cndmask_b32_e64 v12, v12, 0x7f7fffff, vcc_lo
	v_cndmask_b32_e64 v0, v0, 0x7f7fffff, vcc_lo
	s_and_b32 vcc_lo, exec_lo, s2
	s_cbranch_vccz .LBB6_95
.LBB6_96:
	s_sub_u32 s18, s28, s30
	s_subb_u32 s19, s29, s31
	s_mov_b64 s[2:3], src_shared_base
	s_cmp_lg_u32 0, -1
	v_lshlrev_b32_e32 v4, 2, v37
	s_cselect_b32 s2, s3, 0
	s_cselect_b32 s3, 0, 0
	s_load_b32 s26, s[0:1], 0x48
	s_add_u32 s4, s3, 0xff
	s_addc_u32 s3, s2, 0
	s_and_b32 s2, s4, 0xffffff00
	s_delay_alu instid0(SALU_CYCLE_1) | instskip(SKIP_1) | instid1(VALU_DEP_1)
	v_mad_u64_u32 v[0:1], null, v4, s28, s[2:3]
	v_cmp_lt_i64_e64 s2, s[18:19], 1
	s_and_b32 vcc_lo, exec_lo, s2
	s_delay_alu instid0(VALU_DEP_2) | instskip(SKIP_1) | instid1(VALU_DEP_2)
	v_mad_u64_u32 v[2:3], null, v4, s29, v[1:2]
	v_cmp_eq_u32_e64 s2, 0, v34
	v_mov_b32_e32 v1, v2
	s_cbranch_vccnz .LBB6_107
; %bb.97:
	s_waitcnt lgkmcnt(0)
	v_mad_u64_u32 v[2:3], null, s26, v32, 0
	s_ashr_i32 s3, s26, 31
	v_mul_u32_u24_e32 v37, 16, v34
	v_mov_b32_e32 v11, 0
	s_mov_b64 s[24:25], 0
	s_delay_alu instid0(VALU_DEP_3) | instskip(NEXT) | instid1(VALU_DEP_1)
	v_mad_u64_u32 v[4:5], null, s3, v32, v[3:4]
	v_mov_b32_e32 v3, v4
	v_dual_mov_b32 v5, v1 :: v_dual_mov_b32 v4, v0
	s_delay_alu instid0(VALU_DEP_2) | instskip(NEXT) | instid1(VALU_DEP_1)
	v_lshlrev_b64 v[2:3], 2, v[2:3]
	v_add_co_u32 v2, vcc_lo, s22, v2
	s_delay_alu instid0(VALU_DEP_2)
	v_add_co_ci_u32_e32 v3, vcc_lo, s23, v3, vcc_lo
	s_branch .LBB6_99
.LBB6_98:                               ;   in Loop: Header=BB6_99 Depth=1
	s_or_b32 exec_lo, exec_lo, s3
	s_add_u32 s24, s24, 1
	s_addc_u32 s25, s25, 0
	v_add_co_u32 v2, vcc_lo, v2, 4
	v_cmp_le_i64_e64 s3, s[18:19], s[24:25]
	v_add_co_ci_u32_e32 v3, vcc_lo, 0, v3, vcc_lo
	v_add_co_u32 v4, vcc_lo, v4, 4
	v_add_co_ci_u32_e32 v5, vcc_lo, 0, v5, vcc_lo
	s_delay_alu instid0(VALU_DEP_4)
	s_and_b32 vcc_lo, exec_lo, s3
	s_cbranch_vccnz .LBB6_108
.LBB6_99:                               ; =>This Inner Loop Header: Depth=1
	v_dual_mov_b32 v44, 0xff7fffff :: v_dual_mov_b32 v45, v43
	s_mov_b32 s3, exec_lo
	v_cmpx_neq_f32_e32 0x7f7fffff, v12
	s_cbranch_execz .LBB6_101
; %bb.100:                              ;   in Loop: Header=BB6_99 Depth=1
	v_cmp_gt_f32_e32 vcc_lo, v13, v12
	v_cndmask_b32_e32 v44, v12, v13, vcc_lo
	v_cndmask_b32_e64 v45, 0, 1, vcc_lo
	s_delay_alu instid0(VALU_DEP_2) | instskip(SKIP_1) | instid1(VALU_DEP_3)
	v_cmp_gt_f32_e32 vcc_lo, v14, v44
	v_cndmask_b32_e32 v44, v44, v14, vcc_lo
	v_cndmask_b32_e64 v45, v45, 2, vcc_lo
	s_delay_alu instid0(VALU_DEP_2) | instskip(SKIP_1) | instid1(VALU_DEP_3)
	;; [unrolled: 4-line block ×13, first 2 shown]
	v_cmp_gt_f32_e32 vcc_lo, v41, v44
	v_cndmask_b32_e32 v44, v44, v41, vcc_lo
	v_cndmask_b32_e64 v45, v45, 14, vcc_lo
	s_delay_alu instid0(VALU_DEP_2) | instskip(NEXT) | instid1(VALU_DEP_2)
	v_cmp_gt_f32_e32 vcc_lo, v42, v44
	v_cndmask_b32_e64 v45, v45, 15, vcc_lo
	v_cndmask_b32_e32 v44, v44, v42, vcc_lo
	s_delay_alu instid0(VALU_DEP_2)
	v_or_b32_e32 v45, v45, v43
.LBB6_101:                              ;   in Loop: Header=BB6_99 Depth=1
	s_or_b32 exec_lo, exec_lo, s3
	s_delay_alu instid0(VALU_DEP_2) | instskip(NEXT) | instid1(VALU_DEP_2)
	v_mov_b32_dpp v46, v44 quad_perm:[1,0,3,2] row_mask:0xf bank_mask:0xf
	v_mov_b32_dpp v47, v45 quad_perm:[1,0,3,2] row_mask:0xf bank_mask:0xf
	s_mov_b32 s27, exec_lo
	s_delay_alu instid0(VALU_DEP_2) | instskip(NEXT) | instid1(VALU_DEP_2)
	v_cmp_eq_f32_e32 vcc_lo, v44, v46
	v_cmp_lt_i32_e64 s3, v45, v47
	v_cmp_gt_f32_e64 s4, v44, v46
	s_delay_alu instid0(VALU_DEP_2)
	s_and_b32 s3, vcc_lo, s3
	s_delay_alu instid0(VALU_DEP_1) | instid1(SALU_CYCLE_1)
	s_or_b32 vcc_lo, s4, s3
	v_dual_cndmask_b32 v44, v46, v44 :: v_dual_cndmask_b32 v45, v47, v45
	s_delay_alu instid0(VALU_DEP_1) | instskip(NEXT) | instid1(VALU_DEP_2)
	v_mov_b32_dpp v46, v44 quad_perm:[2,3,0,1] row_mask:0xf bank_mask:0xf
	v_mov_b32_dpp v47, v45 quad_perm:[2,3,0,1] row_mask:0xf bank_mask:0xf
	s_delay_alu instid0(VALU_DEP_2) | instskip(NEXT) | instid1(VALU_DEP_2)
	v_cmp_eq_f32_e32 vcc_lo, v44, v46
	v_cmp_lt_i32_e64 s3, v45, v47
	s_delay_alu instid0(VALU_DEP_1) | instskip(SKIP_2) | instid1(VALU_DEP_2)
	s_and_b32 vcc_lo, vcc_lo, s3
	v_cmp_gt_f32_e64 s3, v44, v46
	v_cndmask_b32_e32 v48, v46, v44, vcc_lo
	s_or_b32 vcc_lo, s3, vcc_lo
	v_cndmask_b32_e32 v45, v47, v45, vcc_lo
	s_delay_alu instid0(VALU_DEP_2) | instskip(NEXT) | instid1(VALU_DEP_2)
	v_cndmask_b32_e64 v44, v48, v44, s3
	v_mov_b32_dpp v47, v45 row_half_mirror row_mask:0xf bank_mask:0xf
	s_delay_alu instid0(VALU_DEP_2) | instskip(NEXT) | instid1(VALU_DEP_2)
	v_mov_b32_dpp v46, v44 row_half_mirror row_mask:0xf bank_mask:0xf
	v_cmp_lt_i32_e64 s3, v45, v47
	s_delay_alu instid0(VALU_DEP_2) | instskip(NEXT) | instid1(VALU_DEP_2)
	v_cmp_eq_f32_e32 vcc_lo, v44, v46
	s_and_b32 vcc_lo, vcc_lo, s3
	v_cmp_gt_f32_e64 s3, v44, v46
	v_cndmask_b32_e32 v48, v46, v44, vcc_lo
	s_delay_alu instid0(VALU_DEP_2) | instskip(SKIP_1) | instid1(VALU_DEP_2)
	s_or_b32 vcc_lo, s3, vcc_lo
	v_cndmask_b32_e32 v45, v47, v45, vcc_lo
	v_cndmask_b32_e64 v44, v48, v44, s3
	s_delay_alu instid0(VALU_DEP_2) | instskip(NEXT) | instid1(VALU_DEP_2)
	v_mov_b32_dpp v46, v45 row_mirror row_mask:0xf bank_mask:0xf
	v_mov_b32_dpp v47, v44 row_mirror row_mask:0xf bank_mask:0xf
	s_delay_alu instid0(VALU_DEP_2) | instskip(NEXT) | instid1(VALU_DEP_2)
	v_min_i32_e32 v48, v45, v46
	v_cmp_eq_f32_e32 vcc_lo, v44, v47
	s_delay_alu instid0(VALU_DEP_2) | instskip(SKIP_1) | instid1(VALU_DEP_2)
	v_cndmask_b32_e32 v46, v46, v48, vcc_lo
	v_cmp_gt_f32_e32 vcc_lo, v44, v47
	v_cndmask_b32_e32 v44, v46, v45, vcc_lo
	s_delay_alu instid0(VALU_DEP_1) | instskip(NEXT) | instid1(VALU_DEP_1)
	v_ashrrev_i32_e32 v45, 31, v44
	v_lshrrev_b32_e32 v45, 28, v45
	s_delay_alu instid0(VALU_DEP_1) | instskip(NEXT) | instid1(VALU_DEP_1)
	v_add_nc_u32_e32 v45, v44, v45
	v_ashrrev_i32_e32 v45, 4, v45
	s_delay_alu instid0(VALU_DEP_1)
	v_cmpx_eq_u32_e64 v34, v45
	s_cbranch_execz .LBB6_105
; %bb.102:                              ;   in Loop: Header=BB6_99 Depth=1
	v_sub_nc_u32_e32 v45, v44, v37
	s_mov_b32 s33, exec_lo
	s_delay_alu instid0(VALU_DEP_1)
	v_cmp_eq_u32_e32 vcc_lo, 1, v45
	v_cmp_eq_u32_e64 s3, 2, v45
	v_cmp_eq_u32_e64 s4, 3, v45
	v_cmp_eq_u32_e64 s5, 4, v45
	v_cmp_eq_u32_e64 s6, 5, v45
	v_cmp_eq_u32_e64 s7, 6, v45
	v_cmp_eq_u32_e64 s8, 7, v45
	v_cmp_eq_u32_e64 s9, 8, v45
	v_cmp_eq_u32_e64 s10, 9, v45
	v_cmp_eq_u32_e64 s11, 10, v45
	v_cmp_eq_u32_e64 s12, 11, v45
	v_cmp_eq_u32_e64 s13, 12, v45
	v_cmp_eq_u32_e64 s14, 13, v45
	v_cmp_eq_u32_e64 s15, 14, v45
	v_cmp_eq_u32_e64 s16, 15, v45
	v_cmpx_gt_u32_e32 16, v45
	s_cbranch_execz .LBB6_104
; %bb.103:                              ;   in Loop: Header=BB6_99 Depth=1
	v_cndmask_b32_e32 v46, v35, v36, vcc_lo
	s_delay_alu instid0(VALU_DEP_1) | instskip(NEXT) | instid1(VALU_DEP_1)
	v_cndmask_b32_e64 v46, v46, v28, s3
	v_cndmask_b32_e64 v46, v46, v30, s4
	s_delay_alu instid0(VALU_DEP_1) | instskip(NEXT) | instid1(VALU_DEP_1)
	v_cndmask_b32_e64 v46, v46, v29, s5
	v_cndmask_b32_e64 v46, v46, v31, s6
	;; [unrolled: 3-line block ×7, first 2 shown]
	flat_store_b32 v[4:5], v46
.LBB6_104:                              ;   in Loop: Header=BB6_99 Depth=1
	s_or_b32 exec_lo, exec_lo, s33
	v_cmp_ne_u32_e64 s17, 0, v45
	v_cndmask_b32_e64 v13, v13, 0xff7fffff, vcc_lo
	v_cndmask_b32_e64 v14, v14, 0xff7fffff, s3
	v_cndmask_b32_e64 v15, v15, 0xff7fffff, s4
	;; [unrolled: 1-line block ×15, first 2 shown]
	global_store_b32 v[2:3], v44, off
.LBB6_105:                              ;   in Loop: Header=BB6_99 Depth=1
	s_or_b32 exec_lo, exec_lo, s27
	s_waitcnt lgkmcnt(0)
	s_waitcnt_vscnt null, 0x0
	s_barrier
	buffer_gl0_inv
	s_and_saveexec_b32 s3, s2
	s_cbranch_execz .LBB6_98
; %bb.106:                              ;   in Loop: Header=BB6_99 Depth=1
	flat_load_b32 v44, v[4:5]
	s_waitcnt vmcnt(0) lgkmcnt(0)
	v_add_f32_e32 v11, v11, v44
	s_branch .LBB6_98
.LBB6_107:
	v_mov_b32_e32 v11, 0
.LBB6_108:
	v_cmp_gt_i64_e64 s3, s[30:31], 0
	v_cmp_eq_u32_e64 s2, 0, v34
	s_delay_alu instid0(VALU_DEP_1) | instskip(NEXT) | instid1(SALU_CYCLE_1)
	s_and_b32 s4, s2, s3
	s_and_saveexec_b32 s3, s4
	s_cbranch_execz .LBB6_114
; %bb.109:
	v_dual_mov_b32 v2, v32 :: v_dual_mov_b32 v3, v33
	s_mov_b32 s4, exec_lo
	v_cmpx_le_u64_e64 s[30:31], v[32:33]
	s_cbranch_execz .LBB6_111
; %bb.110:
	v_cvt_f32_u32_e32 v2, s30
	s_sub_i32 s5, 0, s30
	s_delay_alu instid0(VALU_DEP_1) | instskip(SKIP_2) | instid1(VALU_DEP_1)
	v_rcp_iflag_f32_e32 v2, v2
	s_waitcnt_depctr 0xfff
	v_mul_f32_e32 v2, 0x4f7ffffe, v2
	v_cvt_u32_f32_e32 v2, v2
	s_delay_alu instid0(VALU_DEP_1) | instskip(NEXT) | instid1(VALU_DEP_1)
	v_mul_lo_u32 v3, s5, v2
	v_mul_hi_u32 v3, v2, v3
	s_delay_alu instid0(VALU_DEP_1) | instskip(NEXT) | instid1(VALU_DEP_1)
	v_add_nc_u32_e32 v2, v2, v3
	v_mul_hi_u32 v2, v32, v2
	s_delay_alu instid0(VALU_DEP_1) | instskip(NEXT) | instid1(VALU_DEP_1)
	v_mul_lo_u32 v2, v2, s30
	v_sub_nc_u32_e32 v2, v32, v2
	s_delay_alu instid0(VALU_DEP_1) | instskip(SKIP_1) | instid1(VALU_DEP_2)
	v_subrev_nc_u32_e32 v3, s30, v2
	v_cmp_le_u32_e32 vcc_lo, s30, v2
	v_cndmask_b32_e32 v2, v2, v3, vcc_lo
	s_delay_alu instid0(VALU_DEP_1) | instskip(SKIP_1) | instid1(VALU_DEP_2)
	v_subrev_nc_u32_e32 v3, s30, v2
	v_cmp_le_u32_e32 vcc_lo, s30, v2
	v_dual_cndmask_b32 v2, v2, v3 :: v_dual_mov_b32 v3, 0
.LBB6_111:
	s_or_b32 exec_lo, exec_lo, s4
	v_cvt_f64_f32_e32 v[4:5], v11
	s_load_b64 s[0:1], s[0:1], 0x40
	s_waitcnt lgkmcnt(0)
	s_delay_alu instid0(VALU_DEP_1) | instskip(SKIP_1) | instid1(VALU_DEP_2)
	v_div_scale_f64 v[6:7], null, s[0:1], s[0:1], v[4:5]
	v_div_scale_f64 v[14:15], vcc_lo, v[4:5], s[0:1], v[4:5]
	v_rcp_f64_e32 v[8:9], v[6:7]
	s_waitcnt_depctr 0xfff
	v_fma_f64 v[12:13], -v[6:7], v[8:9], 1.0
	s_delay_alu instid0(VALU_DEP_1) | instskip(NEXT) | instid1(VALU_DEP_1)
	v_fma_f64 v[8:9], v[8:9], v[12:13], v[8:9]
	v_fma_f64 v[12:13], -v[6:7], v[8:9], 1.0
	s_delay_alu instid0(VALU_DEP_1) | instskip(NEXT) | instid1(VALU_DEP_1)
	v_fma_f64 v[8:9], v[8:9], v[12:13], v[8:9]
	v_mul_f64 v[12:13], v[14:15], v[8:9]
	s_delay_alu instid0(VALU_DEP_1) | instskip(NEXT) | instid1(VALU_DEP_1)
	v_fma_f64 v[6:7], -v[6:7], v[12:13], v[14:15]
	v_div_fmas_f64 v[6:7], v[6:7], v[8:9], v[12:13]
	v_add_nc_u32_e32 v12, 0x100, v2
	s_delay_alu instid0(VALU_DEP_2) | instskip(SKIP_2) | instid1(VALU_DEP_2)
	v_div_fixup_f64 v[4:5], v[6:7], s[0:1], v[4:5]
	v_mad_u64_u32 v[6:7], null, s26, v32, s[18:19]
	s_ashr_i32 s0, s26, 31
	v_cvt_f32_f64_e32 v8, v[4:5]
	s_delay_alu instid0(VALU_DEP_2) | instskip(NEXT) | instid1(VALU_DEP_1)
	v_mov_b32_e32 v4, v7
	v_mad_u64_u32 v[9:10], null, s0, v32, v[4:5]
	v_cmp_lt_u64_e64 s0, s[30:31], 2
	s_delay_alu instid0(VALU_DEP_2) | instskip(NEXT) | instid1(VALU_DEP_1)
	v_mov_b32_e32 v7, v9
	v_lshlrev_b64 v[4:5], 2, v[6:7]
	s_delay_alu instid0(VALU_DEP_1) | instskip(NEXT) | instid1(VALU_DEP_2)
	v_add_co_u32 v6, vcc_lo, s22, v4
	v_add_co_ci_u32_e32 v7, vcc_lo, s23, v5, vcc_lo
	v_add_co_u32 v9, vcc_lo, s20, v4
	v_add_co_ci_u32_e32 v10, vcc_lo, s21, v5, vcc_lo
	s_and_b32 vcc_lo, exec_lo, s0
	global_store_b32 v[6:7], v12, off
	global_store_b32 v[9:10], v8, off
	s_cbranch_vccnz .LBB6_114
; %bb.112:
	v_add_co_u32 v6, vcc_lo, v4, 4
	v_add_co_ci_u32_e32 v7, vcc_lo, 0, v5, vcc_lo
	s_mov_b64 s[0:1], 1
	s_delay_alu instid0(VALU_DEP_2) | instskip(NEXT) | instid1(VALU_DEP_2)
	v_add_co_u32 v4, vcc_lo, s20, v6
	v_add_co_ci_u32_e32 v5, vcc_lo, s21, v7, vcc_lo
	v_add_co_u32 v6, vcc_lo, s22, v6
	v_add_co_ci_u32_e32 v7, vcc_lo, s23, v7, vcc_lo
	.p2align	6
.LBB6_113:                              ; =>This Inner Loop Header: Depth=1
	s_delay_alu instid0(VALU_DEP_2)
	v_add_co_u32 v9, vcc_lo, v2, 1
	v_add_co_ci_u32_e32 v10, vcc_lo, 0, v3, vcc_lo
	v_add_nc_u32_e32 v2, 0x101, v2
	s_add_u32 s0, s0, 1
	global_store_b32 v[4:5], v8, off
	v_add_co_u32 v4, vcc_lo, v4, 4
	s_addc_u32 s1, s1, 0
	v_add_co_ci_u32_e32 v5, vcc_lo, 0, v5, vcc_lo
	v_cmp_lt_u64_e64 s4, s[0:1], s[30:31]
	global_store_b32 v[6:7], v2, off
	v_add_co_u32 v6, vcc_lo, v6, 4
	v_dual_mov_b32 v2, v9 :: v_dual_mov_b32 v3, v10
	v_add_co_ci_u32_e32 v7, vcc_lo, 0, v7, vcc_lo
	s_and_b32 vcc_lo, exec_lo, s4
	s_cbranch_vccnz .LBB6_113
.LBB6_114:
	s_or_b32 exec_lo, exec_lo, s3
	v_cmp_gt_i64_e64 s3, s[28:29], 0
	s_mov_b64 s[0:1], 0
	s_waitcnt lgkmcnt(0)
	s_waitcnt_vscnt null, 0x0
	s_barrier
	buffer_gl0_inv
	s_and_b32 s2, s2, s3
	s_delay_alu instid0(SALU_CYCLE_1)
	s_and_b32 exec_lo, exec_lo, s2
	s_cbranch_execz .LBB6_121
; %bb.115:
	v_mad_u64_u32 v[2:3], null, s26, v32, 0
	s_ashr_i32 s2, s26, 31
	s_delay_alu instid0(VALU_DEP_1) | instid1(SALU_CYCLE_1)
	v_mad_u64_u32 v[4:5], null, s2, v32, v[3:4]
	v_cmp_lt_u64_e64 s2, s[28:29], 8
	s_delay_alu instid0(VALU_DEP_2) | instskip(NEXT) | instid1(VALU_DEP_1)
	v_mov_b32_e32 v3, v4
	v_lshlrev_b64 v[2:3], 2, v[2:3]
	s_delay_alu instid0(VALU_DEP_1) | instskip(NEXT) | instid1(VALU_DEP_2)
	v_add_co_u32 v2, vcc_lo, s20, v2
	v_add_co_ci_u32_e32 v3, vcc_lo, s21, v3, vcc_lo
	s_and_b32 vcc_lo, exec_lo, s2
	s_cbranch_vccnz .LBB6_118
; %bb.116:
	s_and_b32 s1, s29, 0x7fffffff
	s_and_b32 s0, s28, -8
	s_mov_b64 s[2:3], 0
	s_mov_b64 s[4:5], s[0:1]
.LBB6_117:                              ; =>This Inner Loop Header: Depth=1
	v_add_co_u32 v4, vcc_lo, v0, s2
	v_add_co_ci_u32_e32 v5, vcc_lo, s3, v1, vcc_lo
	flat_load_b32 v8, v[4:5]
	s_waitcnt vmcnt(0) lgkmcnt(0)
	v_div_scale_f32 v6, null, v11, v11, v8
	v_div_scale_f32 v10, vcc_lo, v8, v11, v8
	s_delay_alu instid0(VALU_DEP_2) | instskip(SKIP_2) | instid1(VALU_DEP_1)
	v_rcp_f32_e32 v7, v6
	s_waitcnt_depctr 0xfff
	v_fma_f32 v9, -v6, v7, 1.0
	v_fmac_f32_e32 v7, v9, v7
	s_delay_alu instid0(VALU_DEP_1) | instskip(NEXT) | instid1(VALU_DEP_1)
	v_mul_f32_e32 v9, v10, v7
	v_fma_f32 v12, -v6, v9, v10
	s_delay_alu instid0(VALU_DEP_1) | instskip(NEXT) | instid1(VALU_DEP_1)
	v_fmac_f32_e32 v9, v12, v7
	v_fma_f32 v6, -v6, v9, v10
	s_delay_alu instid0(VALU_DEP_1) | instskip(SKIP_2) | instid1(VALU_DEP_3)
	v_div_fmas_f32 v9, v6, v7, v9
	v_add_co_u32 v6, vcc_lo, v2, s2
	v_add_co_ci_u32_e32 v7, vcc_lo, s3, v3, vcc_lo
	v_div_fixup_f32 v8, v9, v11, v8
	s_add_u32 s2, s2, 32
	s_addc_u32 s3, s3, 0
	s_add_u32 s4, s4, -8
	s_addc_u32 s5, s5, -1
	global_store_b32 v[6:7], v8, off
	flat_load_b32 v8, v[4:5] offset:4
	s_cmp_lg_u64 s[4:5], 0
	s_waitcnt vmcnt(0) lgkmcnt(0)
	v_div_scale_f32 v9, null, v11, v11, v8
	v_div_scale_f32 v13, vcc_lo, v8, v11, v8
	s_delay_alu instid0(VALU_DEP_2) | instskip(SKIP_2) | instid1(VALU_DEP_1)
	v_rcp_f32_e32 v10, v9
	s_waitcnt_depctr 0xfff
	v_fma_f32 v12, -v9, v10, 1.0
	v_fmac_f32_e32 v10, v12, v10
	s_delay_alu instid0(VALU_DEP_1) | instskip(NEXT) | instid1(VALU_DEP_1)
	v_mul_f32_e32 v12, v13, v10
	v_fma_f32 v14, -v9, v12, v13
	s_delay_alu instid0(VALU_DEP_1) | instskip(NEXT) | instid1(VALU_DEP_1)
	v_fmac_f32_e32 v12, v14, v10
	v_fma_f32 v9, -v9, v12, v13
	s_delay_alu instid0(VALU_DEP_1) | instskip(NEXT) | instid1(VALU_DEP_1)
	v_div_fmas_f32 v9, v9, v10, v12
	v_div_fixup_f32 v8, v9, v11, v8
	global_store_b32 v[6:7], v8, off offset:4
	flat_load_b32 v8, v[4:5] offset:8
	s_waitcnt vmcnt(0) lgkmcnt(0)
	v_div_scale_f32 v9, null, v11, v11, v8
	v_div_scale_f32 v13, vcc_lo, v8, v11, v8
	s_delay_alu instid0(VALU_DEP_2) | instskip(SKIP_2) | instid1(VALU_DEP_1)
	v_rcp_f32_e32 v10, v9
	s_waitcnt_depctr 0xfff
	v_fma_f32 v12, -v9, v10, 1.0
	v_fmac_f32_e32 v10, v12, v10
	s_delay_alu instid0(VALU_DEP_1) | instskip(NEXT) | instid1(VALU_DEP_1)
	v_mul_f32_e32 v12, v13, v10
	v_fma_f32 v14, -v9, v12, v13
	s_delay_alu instid0(VALU_DEP_1) | instskip(NEXT) | instid1(VALU_DEP_1)
	v_fmac_f32_e32 v12, v14, v10
	v_fma_f32 v9, -v9, v12, v13
	s_delay_alu instid0(VALU_DEP_1) | instskip(NEXT) | instid1(VALU_DEP_1)
	v_div_fmas_f32 v9, v9, v10, v12
	v_div_fixup_f32 v8, v9, v11, v8
	global_store_b32 v[6:7], v8, off offset:8
	flat_load_b32 v8, v[4:5] offset:12
	;; [unrolled: 19-line block ×6, first 2 shown]
	s_waitcnt vmcnt(0) lgkmcnt(0)
	v_div_scale_f32 v5, null, v11, v11, v4
	v_div_scale_f32 v10, vcc_lo, v4, v11, v4
	s_delay_alu instid0(VALU_DEP_2) | instskip(SKIP_2) | instid1(VALU_DEP_1)
	v_rcp_f32_e32 v8, v5
	s_waitcnt_depctr 0xfff
	v_fma_f32 v9, -v5, v8, 1.0
	v_fmac_f32_e32 v8, v9, v8
	s_delay_alu instid0(VALU_DEP_1) | instskip(NEXT) | instid1(VALU_DEP_1)
	v_mul_f32_e32 v9, v10, v8
	v_fma_f32 v12, -v5, v9, v10
	s_delay_alu instid0(VALU_DEP_1) | instskip(NEXT) | instid1(VALU_DEP_1)
	v_fmac_f32_e32 v9, v12, v8
	v_fma_f32 v5, -v5, v9, v10
	s_delay_alu instid0(VALU_DEP_1) | instskip(NEXT) | instid1(VALU_DEP_1)
	v_div_fmas_f32 v5, v5, v8, v9
	v_div_fixup_f32 v4, v5, v11, v4
	global_store_b32 v[6:7], v4, off offset:28
	s_cbranch_scc1 .LBB6_117
.LBB6_118:
	s_and_b32 s2, s28, 7
	s_mov_b32 s3, 0
	s_delay_alu instid0(SALU_CYCLE_1)
	s_cmp_eq_u64 s[2:3], 0
	s_cbranch_scc1 .LBB6_121
; %bb.119:
	s_mov_b64 s[4:5], s[2:3]
	s_set_inst_prefetch_distance 0x1
	.p2align	6
.LBB6_120:                              ; =>This Inner Loop Header: Depth=1
	s_lshl_b64 s[6:7], s[0:1], 2
	s_add_i32 s2, s0, 1
	v_add_co_u32 v4, vcc_lo, v0, s6
	v_add_co_ci_u32_e32 v5, vcc_lo, s7, v1, vcc_lo
	s_add_u32 s4, s4, -1
	s_addc_u32 s5, s5, -1
	s_mov_b64 s[0:1], s[2:3]
	flat_load_b32 v6, v[4:5]
	s_cmp_lg_u64 s[4:5], 0
	s_waitcnt vmcnt(0) lgkmcnt(0)
	v_div_scale_f32 v4, null, v11, v11, v6
	v_div_scale_f32 v8, vcc_lo, v6, v11, v6
	s_delay_alu instid0(VALU_DEP_2) | instskip(SKIP_2) | instid1(VALU_DEP_1)
	v_rcp_f32_e32 v5, v4
	s_waitcnt_depctr 0xfff
	v_fma_f32 v7, -v4, v5, 1.0
	v_fmac_f32_e32 v5, v7, v5
	s_delay_alu instid0(VALU_DEP_1) | instskip(NEXT) | instid1(VALU_DEP_1)
	v_mul_f32_e32 v7, v8, v5
	v_fma_f32 v9, -v4, v7, v8
	s_delay_alu instid0(VALU_DEP_1) | instskip(NEXT) | instid1(VALU_DEP_1)
	v_fmac_f32_e32 v7, v9, v5
	v_fma_f32 v4, -v4, v7, v8
	s_delay_alu instid0(VALU_DEP_1) | instskip(SKIP_2) | instid1(VALU_DEP_3)
	v_div_fmas_f32 v7, v4, v5, v7
	v_add_co_u32 v4, vcc_lo, v2, s6
	v_add_co_ci_u32_e32 v5, vcc_lo, s7, v3, vcc_lo
	v_div_fixup_f32 v6, v7, v11, v6
	global_store_b32 v[4:5], v6, off
	s_cbranch_scc1 .LBB6_120
.LBB6_121:
	s_set_inst_prefetch_distance 0x2
	s_nop 0
	s_sendmsg sendmsg(MSG_DEALLOC_VGPRS)
	s_endpgm
	.section	.rodata,"a",@progbits
	.p2align	6, 0x0
	.amdhsa_kernel _Z21moe_fused_gate_kernelIfLi16ELi256ELi16ELi1EEvPvS0_PfPilllldi
		.amdhsa_group_segment_fixed_size 0
		.amdhsa_private_segment_fixed_size 0
		.amdhsa_kernarg_size 76
		.amdhsa_user_sgpr_count 15
		.amdhsa_user_sgpr_dispatch_ptr 0
		.amdhsa_user_sgpr_queue_ptr 0
		.amdhsa_user_sgpr_kernarg_segment_ptr 1
		.amdhsa_user_sgpr_dispatch_id 0
		.amdhsa_user_sgpr_private_segment_size 0
		.amdhsa_wavefront_size32 1
		.amdhsa_uses_dynamic_stack 0
		.amdhsa_enable_private_segment 0
		.amdhsa_system_sgpr_workgroup_id_x 1
		.amdhsa_system_sgpr_workgroup_id_y 0
		.amdhsa_system_sgpr_workgroup_id_z 0
		.amdhsa_system_sgpr_workgroup_info 0
		.amdhsa_system_vgpr_workitem_id 1
		.amdhsa_next_free_vgpr 49
		.amdhsa_next_free_sgpr 34
		.amdhsa_reserve_vcc 1
		.amdhsa_float_round_mode_32 0
		.amdhsa_float_round_mode_16_64 0
		.amdhsa_float_denorm_mode_32 3
		.amdhsa_float_denorm_mode_16_64 3
		.amdhsa_dx10_clamp 1
		.amdhsa_ieee_mode 1
		.amdhsa_fp16_overflow 0
		.amdhsa_workgroup_processor_mode 1
		.amdhsa_memory_ordered 1
		.amdhsa_forward_progress 0
		.amdhsa_shared_vgpr_count 0
		.amdhsa_exception_fp_ieee_invalid_op 0
		.amdhsa_exception_fp_denorm_src 0
		.amdhsa_exception_fp_ieee_div_zero 0
		.amdhsa_exception_fp_ieee_overflow 0
		.amdhsa_exception_fp_ieee_underflow 0
		.amdhsa_exception_fp_ieee_inexact 0
		.amdhsa_exception_int_div_zero 0
	.end_amdhsa_kernel
	.section	.text._Z21moe_fused_gate_kernelIfLi16ELi256ELi16ELi1EEvPvS0_PfPilllldi,"axG",@progbits,_Z21moe_fused_gate_kernelIfLi16ELi256ELi16ELi1EEvPvS0_PfPilllldi,comdat
.Lfunc_end6:
	.size	_Z21moe_fused_gate_kernelIfLi16ELi256ELi16ELi1EEvPvS0_PfPilllldi, .Lfunc_end6-_Z21moe_fused_gate_kernelIfLi16ELi256ELi16ELi1EEvPvS0_PfPilllldi
                                        ; -- End function
	.section	.AMDGPU.csdata,"",@progbits
; Kernel info:
; codeLenInByte = 8388
; NumSgprs: 36
; NumVgprs: 49
; ScratchSize: 0
; MemoryBound: 1
; FloatMode: 240
; IeeeMode: 1
; LDSByteSize: 0 bytes/workgroup (compile time only)
; SGPRBlocks: 4
; VGPRBlocks: 6
; NumSGPRsForWavesPerEU: 36
; NumVGPRsForWavesPerEU: 49
; Occupancy: 16
; WaveLimiterHint : 0
; COMPUTE_PGM_RSRC2:SCRATCH_EN: 0
; COMPUTE_PGM_RSRC2:USER_SGPR: 15
; COMPUTE_PGM_RSRC2:TRAP_HANDLER: 0
; COMPUTE_PGM_RSRC2:TGID_X_EN: 1
; COMPUTE_PGM_RSRC2:TGID_Y_EN: 0
; COMPUTE_PGM_RSRC2:TGID_Z_EN: 0
; COMPUTE_PGM_RSRC2:TIDIG_COMP_CNT: 1
	.section	.text._Z21moe_fused_gate_kernelItLi24ELi192ELi8ELi1EEvPvS0_PfPilllldi,"axG",@progbits,_Z21moe_fused_gate_kernelItLi24ELi192ELi8ELi1EEvPvS0_PfPilllldi,comdat
	.protected	_Z21moe_fused_gate_kernelItLi24ELi192ELi8ELi1EEvPvS0_PfPilllldi ; -- Begin function _Z21moe_fused_gate_kernelItLi24ELi192ELi8ELi1EEvPvS0_PfPilllldi
	.globl	_Z21moe_fused_gate_kernelItLi24ELi192ELi8ELi1EEvPvS0_PfPilllldi
	.p2align	8
	.type	_Z21moe_fused_gate_kernelItLi24ELi192ELi8ELi1EEvPvS0_PfPilllldi,@function
_Z21moe_fused_gate_kernelItLi24ELi192ELi8ELi1EEvPvS0_PfPilllldi: ; @_Z21moe_fused_gate_kernelItLi24ELi192ELi8ELi1EEvPvS0_PfPilllldi
; %bb.0:
	s_load_b512 s[36:51], s[0:1], 0x0
	v_bfe_u32 v1, v0, 10, 10
	s_mov_b32 s2, exec_lo
	v_mov_b32_e32 v28, 0
	v_and_b32_e32 v0, 0x3ff, v0
	s_delay_alu instid0(VALU_DEP_3) | instskip(NEXT) | instid1(VALU_DEP_3)
	v_add_nc_u32_e32 v1, s15, v1
	v_mov_b32_e32 v25, v28
	s_delay_alu instid0(VALU_DEP_3) | instskip(NEXT) | instid1(VALU_DEP_1)
	v_lshrrev_b32_e32 v34, 3, v0
	v_lshl_add_u32 v24, v1, 2, v34
	s_waitcnt lgkmcnt(0)
	s_delay_alu instid0(VALU_DEP_1)
	v_cmpx_gt_i64_e64 s[44:45], v[24:25]
	s_cbranch_execz .LBB7_169
; %bb.1:
	v_and_b32_e32 v26, 7, v0
	v_mad_u64_u32 v[0:1], null, 0x180, v24, s[36:37]
	s_mov_b32 s2, exec_lo
	s_delay_alu instid0(VALU_DEP_2) | instskip(NEXT) | instid1(VALU_DEP_1)
	v_mul_u32_u24_e32 v27, 24, v26
	v_lshlrev_b32_e32 v8, 1, v27
	s_delay_alu instid0(VALU_DEP_1) | instskip(NEXT) | instid1(VALU_DEP_4)
	v_add_co_u32 v0, vcc_lo, v0, v8
	v_add_co_ci_u32_e32 v1, vcc_lo, 0, v1, vcc_lo
	s_clause 0x2
	global_load_b128 v[20:23], v[0:1], off
	global_load_b128 v[16:19], v[0:1], off offset:16
	global_load_b128 v[12:15], v[0:1], off offset:32
	s_clause 0x2
	global_load_b128 v[0:3], v8, s[38:39] offset:32
	global_load_b128 v[4:7], v8, s[38:39] offset:16
	global_load_b128 v[8:11], v8, s[38:39]
	s_waitcnt vmcnt(5)
	v_lshlrev_b32_e32 v29, 16, v20
	s_delay_alu instid0(VALU_DEP_1)
	v_cmpx_o_f32_e32 v29, v29
	s_cbranch_execz .LBB7_3
; %bb.2:
	v_mul_f32_e32 v28, 0xbfb8aa3b, v29
	v_cmp_nlt_f32_e32 vcc_lo, 0x42ce8ed0, v29
	s_delay_alu instid0(VALU_DEP_2) | instskip(SKIP_1) | instid1(VALU_DEP_1)
	v_rndne_f32_e32 v30, v28
	v_fma_f32 v31, 0xbfb8aa3b, v29, -v28
	v_dual_sub_f32 v28, v28, v30 :: v_dual_fmamk_f32 v31, v29, 0xb2a5705f, v31
	v_cvt_i32_f32_e32 v30, v30
	s_delay_alu instid0(VALU_DEP_2) | instskip(NEXT) | instid1(VALU_DEP_1)
	v_add_f32_e32 v28, v28, v31
	v_exp_f32_e32 v28, v28
	s_waitcnt_depctr 0xfff
	v_ldexp_f32 v28, v28, v30
	s_delay_alu instid0(VALU_DEP_1) | instskip(SKIP_1) | instid1(VALU_DEP_2)
	v_cndmask_b32_e32 v28, 0, v28, vcc_lo
	v_cmp_ngt_f32_e32 vcc_lo, 0xc2b17218, v29
	v_cndmask_b32_e32 v28, 0x7f800000, v28, vcc_lo
	s_delay_alu instid0(VALU_DEP_1) | instskip(NEXT) | instid1(VALU_DEP_1)
	v_add_f32_e32 v28, 1.0, v28
	v_div_scale_f32 v29, null, v28, v28, 1.0
	s_delay_alu instid0(VALU_DEP_1) | instskip(SKIP_2) | instid1(VALU_DEP_1)
	v_rcp_f32_e32 v30, v29
	s_waitcnt_depctr 0xfff
	v_fma_f32 v31, -v29, v30, 1.0
	v_fmac_f32_e32 v30, v31, v30
	v_div_scale_f32 v31, vcc_lo, 1.0, v28, 1.0
	s_delay_alu instid0(VALU_DEP_1) | instskip(NEXT) | instid1(VALU_DEP_1)
	v_mul_f32_e32 v32, v31, v30
	v_fma_f32 v33, -v29, v32, v31
	s_delay_alu instid0(VALU_DEP_1) | instskip(NEXT) | instid1(VALU_DEP_1)
	v_fmac_f32_e32 v32, v33, v30
	v_fma_f32 v29, -v29, v32, v31
	s_delay_alu instid0(VALU_DEP_1) | instskip(NEXT) | instid1(VALU_DEP_1)
	v_div_fmas_f32 v29, v29, v30, v32
	v_div_fixup_f32 v28, v29, v28, 1.0
.LBB7_3:
	s_or_b32 exec_lo, exec_lo, s2
	v_dual_mov_b32 v29, 0 :: v_dual_and_b32 v30, 0xffff0000, v20
	v_mov_b32_e32 v20, 0
	s_mov_b32 s2, exec_lo
	s_delay_alu instid0(VALU_DEP_2)
	v_cmpx_o_f32_e32 v30, v30
	s_cbranch_execz .LBB7_5
; %bb.4:
	v_mul_f32_e32 v29, 0xbfb8aa3b, v30
	v_cmp_nlt_f32_e32 vcc_lo, 0x42ce8ed0, v30
	s_delay_alu instid0(VALU_DEP_2) | instskip(SKIP_1) | instid1(VALU_DEP_1)
	v_rndne_f32_e32 v31, v29
	v_fma_f32 v32, 0xbfb8aa3b, v30, -v29
	v_dual_sub_f32 v29, v29, v31 :: v_dual_fmamk_f32 v32, v30, 0xb2a5705f, v32
	v_cvt_i32_f32_e32 v31, v31
	s_delay_alu instid0(VALU_DEP_2) | instskip(NEXT) | instid1(VALU_DEP_1)
	v_add_f32_e32 v29, v29, v32
	v_exp_f32_e32 v29, v29
	s_waitcnt_depctr 0xfff
	v_ldexp_f32 v29, v29, v31
	s_delay_alu instid0(VALU_DEP_1) | instskip(SKIP_1) | instid1(VALU_DEP_2)
	v_cndmask_b32_e32 v29, 0, v29, vcc_lo
	v_cmp_ngt_f32_e32 vcc_lo, 0xc2b17218, v30
	v_cndmask_b32_e32 v29, 0x7f800000, v29, vcc_lo
	s_delay_alu instid0(VALU_DEP_1) | instskip(NEXT) | instid1(VALU_DEP_1)
	v_add_f32_e32 v29, 1.0, v29
	v_div_scale_f32 v30, null, v29, v29, 1.0
	s_delay_alu instid0(VALU_DEP_1) | instskip(SKIP_2) | instid1(VALU_DEP_1)
	v_rcp_f32_e32 v31, v30
	s_waitcnt_depctr 0xfff
	v_fma_f32 v32, -v30, v31, 1.0
	v_fmac_f32_e32 v31, v32, v31
	v_div_scale_f32 v32, vcc_lo, 1.0, v29, 1.0
	s_delay_alu instid0(VALU_DEP_1) | instskip(NEXT) | instid1(VALU_DEP_1)
	v_mul_f32_e32 v33, v32, v31
	v_fma_f32 v35, -v30, v33, v32
	s_delay_alu instid0(VALU_DEP_1) | instskip(NEXT) | instid1(VALU_DEP_1)
	v_fmac_f32_e32 v33, v35, v31
	v_fma_f32 v30, -v30, v33, v32
	s_delay_alu instid0(VALU_DEP_1) | instskip(NEXT) | instid1(VALU_DEP_1)
	v_div_fmas_f32 v30, v30, v31, v33
	v_div_fixup_f32 v29, v30, v29, 1.0
.LBB7_5:
	s_or_b32 exec_lo, exec_lo, s2
	v_lshlrev_b32_e32 v30, 16, v21
	s_mov_b32 s2, exec_lo
	s_delay_alu instid0(VALU_DEP_1)
	v_cmpx_o_f32_e32 v30, v30
	s_cbranch_execz .LBB7_7
; %bb.6:
	v_mul_f32_e32 v20, 0xbfb8aa3b, v30
	v_cmp_nlt_f32_e32 vcc_lo, 0x42ce8ed0, v30
	s_delay_alu instid0(VALU_DEP_2) | instskip(SKIP_1) | instid1(VALU_DEP_2)
	v_rndne_f32_e32 v31, v20
	v_fma_f32 v32, 0xbfb8aa3b, v30, -v20
	v_sub_f32_e32 v20, v20, v31
	s_delay_alu instid0(VALU_DEP_2) | instskip(SKIP_1) | instid1(VALU_DEP_2)
	v_fmamk_f32 v32, v30, 0xb2a5705f, v32
	v_cvt_i32_f32_e32 v31, v31
	v_add_f32_e32 v20, v20, v32
	s_delay_alu instid0(VALU_DEP_1) | instskip(SKIP_2) | instid1(VALU_DEP_1)
	v_exp_f32_e32 v20, v20
	s_waitcnt_depctr 0xfff
	v_ldexp_f32 v20, v20, v31
	v_cndmask_b32_e32 v20, 0, v20, vcc_lo
	v_cmp_ngt_f32_e32 vcc_lo, 0xc2b17218, v30
	s_delay_alu instid0(VALU_DEP_2) | instskip(NEXT) | instid1(VALU_DEP_1)
	v_cndmask_b32_e32 v20, 0x7f800000, v20, vcc_lo
	v_add_f32_e32 v20, 1.0, v20
	s_delay_alu instid0(VALU_DEP_1) | instskip(NEXT) | instid1(VALU_DEP_1)
	v_div_scale_f32 v30, null, v20, v20, 1.0
	v_rcp_f32_e32 v31, v30
	s_waitcnt_depctr 0xfff
	v_fma_f32 v32, -v30, v31, 1.0
	s_delay_alu instid0(VALU_DEP_1) | instskip(SKIP_1) | instid1(VALU_DEP_1)
	v_fmac_f32_e32 v31, v32, v31
	v_div_scale_f32 v32, vcc_lo, 1.0, v20, 1.0
	v_mul_f32_e32 v33, v32, v31
	s_delay_alu instid0(VALU_DEP_1) | instskip(NEXT) | instid1(VALU_DEP_1)
	v_fma_f32 v35, -v30, v33, v32
	v_fmac_f32_e32 v33, v35, v31
	s_delay_alu instid0(VALU_DEP_1) | instskip(NEXT) | instid1(VALU_DEP_1)
	v_fma_f32 v30, -v30, v33, v32
	v_div_fmas_f32 v30, v30, v31, v33
	s_delay_alu instid0(VALU_DEP_1)
	v_div_fixup_f32 v20, v30, v20, 1.0
.LBB7_7:
	s_or_b32 exec_lo, exec_lo, s2
	v_dual_mov_b32 v30, 0 :: v_dual_and_b32 v31, 0xffff0000, v21
	v_mov_b32_e32 v21, 0
	s_mov_b32 s2, exec_lo
	s_delay_alu instid0(VALU_DEP_2)
	v_cmpx_o_f32_e32 v31, v31
	s_cbranch_execz .LBB7_9
; %bb.8:
	v_mul_f32_e32 v30, 0xbfb8aa3b, v31
	v_cmp_nlt_f32_e32 vcc_lo, 0x42ce8ed0, v31
	s_delay_alu instid0(VALU_DEP_2) | instskip(SKIP_1) | instid1(VALU_DEP_1)
	v_rndne_f32_e32 v32, v30
	v_fma_f32 v33, 0xbfb8aa3b, v31, -v30
	v_dual_sub_f32 v30, v30, v32 :: v_dual_fmamk_f32 v33, v31, 0xb2a5705f, v33
	v_cvt_i32_f32_e32 v32, v32
	s_delay_alu instid0(VALU_DEP_2) | instskip(NEXT) | instid1(VALU_DEP_1)
	v_add_f32_e32 v30, v30, v33
	v_exp_f32_e32 v30, v30
	s_waitcnt_depctr 0xfff
	v_ldexp_f32 v30, v30, v32
	s_delay_alu instid0(VALU_DEP_1) | instskip(SKIP_1) | instid1(VALU_DEP_2)
	v_cndmask_b32_e32 v30, 0, v30, vcc_lo
	v_cmp_ngt_f32_e32 vcc_lo, 0xc2b17218, v31
	v_cndmask_b32_e32 v30, 0x7f800000, v30, vcc_lo
	s_delay_alu instid0(VALU_DEP_1) | instskip(NEXT) | instid1(VALU_DEP_1)
	v_add_f32_e32 v30, 1.0, v30
	v_div_scale_f32 v31, null, v30, v30, 1.0
	s_delay_alu instid0(VALU_DEP_1) | instskip(SKIP_2) | instid1(VALU_DEP_1)
	v_rcp_f32_e32 v32, v31
	s_waitcnt_depctr 0xfff
	v_fma_f32 v33, -v31, v32, 1.0
	v_fmac_f32_e32 v32, v33, v32
	v_div_scale_f32 v33, vcc_lo, 1.0, v30, 1.0
	s_delay_alu instid0(VALU_DEP_1) | instskip(NEXT) | instid1(VALU_DEP_1)
	v_mul_f32_e32 v35, v33, v32
	v_fma_f32 v36, -v31, v35, v33
	s_delay_alu instid0(VALU_DEP_1) | instskip(NEXT) | instid1(VALU_DEP_1)
	v_fmac_f32_e32 v35, v36, v32
	v_fma_f32 v31, -v31, v35, v33
	s_delay_alu instid0(VALU_DEP_1) | instskip(NEXT) | instid1(VALU_DEP_1)
	v_div_fmas_f32 v31, v31, v32, v35
	v_div_fixup_f32 v30, v31, v30, 1.0
.LBB7_9:
	s_or_b32 exec_lo, exec_lo, s2
	v_lshlrev_b32_e32 v31, 16, v22
	s_mov_b32 s2, exec_lo
	s_delay_alu instid0(VALU_DEP_1)
	v_cmpx_o_f32_e32 v31, v31
	s_cbranch_execz .LBB7_11
; %bb.10:
	v_mul_f32_e32 v21, 0xbfb8aa3b, v31
	v_cmp_nlt_f32_e32 vcc_lo, 0x42ce8ed0, v31
	s_delay_alu instid0(VALU_DEP_2) | instskip(SKIP_1) | instid1(VALU_DEP_2)
	v_rndne_f32_e32 v32, v21
	v_fma_f32 v33, 0xbfb8aa3b, v31, -v21
	v_sub_f32_e32 v21, v21, v32
	s_delay_alu instid0(VALU_DEP_2) | instskip(SKIP_1) | instid1(VALU_DEP_2)
	v_fmamk_f32 v33, v31, 0xb2a5705f, v33
	v_cvt_i32_f32_e32 v32, v32
	v_add_f32_e32 v21, v21, v33
	s_delay_alu instid0(VALU_DEP_1) | instskip(SKIP_2) | instid1(VALU_DEP_1)
	v_exp_f32_e32 v21, v21
	s_waitcnt_depctr 0xfff
	v_ldexp_f32 v21, v21, v32
	v_cndmask_b32_e32 v21, 0, v21, vcc_lo
	v_cmp_ngt_f32_e32 vcc_lo, 0xc2b17218, v31
	s_delay_alu instid0(VALU_DEP_2) | instskip(NEXT) | instid1(VALU_DEP_1)
	v_cndmask_b32_e32 v21, 0x7f800000, v21, vcc_lo
	v_add_f32_e32 v21, 1.0, v21
	s_delay_alu instid0(VALU_DEP_1) | instskip(NEXT) | instid1(VALU_DEP_1)
	v_div_scale_f32 v31, null, v21, v21, 1.0
	v_rcp_f32_e32 v32, v31
	s_waitcnt_depctr 0xfff
	v_fma_f32 v33, -v31, v32, 1.0
	s_delay_alu instid0(VALU_DEP_1) | instskip(SKIP_1) | instid1(VALU_DEP_1)
	v_fmac_f32_e32 v32, v33, v32
	v_div_scale_f32 v33, vcc_lo, 1.0, v21, 1.0
	v_mul_f32_e32 v35, v33, v32
	s_delay_alu instid0(VALU_DEP_1) | instskip(NEXT) | instid1(VALU_DEP_1)
	v_fma_f32 v36, -v31, v35, v33
	v_fmac_f32_e32 v35, v36, v32
	s_delay_alu instid0(VALU_DEP_1) | instskip(NEXT) | instid1(VALU_DEP_1)
	v_fma_f32 v31, -v31, v35, v33
	v_div_fmas_f32 v31, v31, v32, v35
	s_delay_alu instid0(VALU_DEP_1)
	v_div_fixup_f32 v21, v31, v21, 1.0
.LBB7_11:
	s_or_b32 exec_lo, exec_lo, s2
	v_dual_mov_b32 v31, 0 :: v_dual_and_b32 v32, 0xffff0000, v22
	v_mov_b32_e32 v22, 0
	s_mov_b32 s2, exec_lo
	s_delay_alu instid0(VALU_DEP_2)
	v_cmpx_o_f32_e32 v32, v32
	s_cbranch_execz .LBB7_13
; %bb.12:
	v_mul_f32_e32 v31, 0xbfb8aa3b, v32
	v_cmp_nlt_f32_e32 vcc_lo, 0x42ce8ed0, v32
	s_delay_alu instid0(VALU_DEP_2) | instskip(SKIP_1) | instid1(VALU_DEP_2)
	v_rndne_f32_e32 v33, v31
	v_fma_f32 v35, 0xbfb8aa3b, v32, -v31
	v_sub_f32_e32 v31, v31, v33
	s_delay_alu instid0(VALU_DEP_2) | instskip(SKIP_1) | instid1(VALU_DEP_2)
	v_fmamk_f32 v35, v32, 0xb2a5705f, v35
	v_cvt_i32_f32_e32 v33, v33
	v_add_f32_e32 v31, v31, v35
	s_delay_alu instid0(VALU_DEP_1) | instskip(SKIP_2) | instid1(VALU_DEP_1)
	v_exp_f32_e32 v31, v31
	s_waitcnt_depctr 0xfff
	v_ldexp_f32 v31, v31, v33
	v_cndmask_b32_e32 v31, 0, v31, vcc_lo
	v_cmp_ngt_f32_e32 vcc_lo, 0xc2b17218, v32
	s_delay_alu instid0(VALU_DEP_2) | instskip(NEXT) | instid1(VALU_DEP_1)
	v_cndmask_b32_e32 v31, 0x7f800000, v31, vcc_lo
	v_add_f32_e32 v31, 1.0, v31
	s_delay_alu instid0(VALU_DEP_1) | instskip(NEXT) | instid1(VALU_DEP_1)
	v_div_scale_f32 v32, null, v31, v31, 1.0
	v_rcp_f32_e32 v33, v32
	s_waitcnt_depctr 0xfff
	v_fma_f32 v35, -v32, v33, 1.0
	s_delay_alu instid0(VALU_DEP_1) | instskip(SKIP_1) | instid1(VALU_DEP_1)
	v_fmac_f32_e32 v33, v35, v33
	v_div_scale_f32 v35, vcc_lo, 1.0, v31, 1.0
	v_mul_f32_e32 v36, v35, v33
	s_delay_alu instid0(VALU_DEP_1) | instskip(NEXT) | instid1(VALU_DEP_1)
	v_fma_f32 v37, -v32, v36, v35
	v_fmac_f32_e32 v36, v37, v33
	s_delay_alu instid0(VALU_DEP_1) | instskip(NEXT) | instid1(VALU_DEP_1)
	v_fma_f32 v32, -v32, v36, v35
	v_div_fmas_f32 v32, v32, v33, v36
	s_delay_alu instid0(VALU_DEP_1)
	v_div_fixup_f32 v31, v32, v31, 1.0
.LBB7_13:
	s_or_b32 exec_lo, exec_lo, s2
	v_lshlrev_b32_e32 v32, 16, v23
	s_mov_b32 s2, exec_lo
	s_delay_alu instid0(VALU_DEP_1)
	v_cmpx_o_f32_e32 v32, v32
	s_cbranch_execz .LBB7_15
; %bb.14:
	v_mul_f32_e32 v22, 0xbfb8aa3b, v32
	v_cmp_nlt_f32_e32 vcc_lo, 0x42ce8ed0, v32
	s_delay_alu instid0(VALU_DEP_2) | instskip(SKIP_1) | instid1(VALU_DEP_1)
	v_rndne_f32_e32 v33, v22
	v_fma_f32 v35, 0xbfb8aa3b, v32, -v22
	v_dual_sub_f32 v22, v22, v33 :: v_dual_fmamk_f32 v35, v32, 0xb2a5705f, v35
	v_cvt_i32_f32_e32 v33, v33
	s_delay_alu instid0(VALU_DEP_2) | instskip(NEXT) | instid1(VALU_DEP_1)
	v_add_f32_e32 v22, v22, v35
	v_exp_f32_e32 v22, v22
	s_waitcnt_depctr 0xfff
	v_ldexp_f32 v22, v22, v33
	s_delay_alu instid0(VALU_DEP_1) | instskip(SKIP_1) | instid1(VALU_DEP_2)
	v_cndmask_b32_e32 v22, 0, v22, vcc_lo
	v_cmp_ngt_f32_e32 vcc_lo, 0xc2b17218, v32
	v_cndmask_b32_e32 v22, 0x7f800000, v22, vcc_lo
	s_delay_alu instid0(VALU_DEP_1) | instskip(NEXT) | instid1(VALU_DEP_1)
	v_add_f32_e32 v22, 1.0, v22
	v_div_scale_f32 v32, null, v22, v22, 1.0
	s_delay_alu instid0(VALU_DEP_1) | instskip(SKIP_2) | instid1(VALU_DEP_1)
	v_rcp_f32_e32 v33, v32
	s_waitcnt_depctr 0xfff
	v_fma_f32 v35, -v32, v33, 1.0
	v_fmac_f32_e32 v33, v35, v33
	v_div_scale_f32 v35, vcc_lo, 1.0, v22, 1.0
	s_delay_alu instid0(VALU_DEP_1) | instskip(NEXT) | instid1(VALU_DEP_1)
	v_mul_f32_e32 v36, v35, v33
	v_fma_f32 v37, -v32, v36, v35
	s_delay_alu instid0(VALU_DEP_1) | instskip(NEXT) | instid1(VALU_DEP_1)
	v_fmac_f32_e32 v36, v37, v33
	v_fma_f32 v32, -v32, v36, v35
	s_delay_alu instid0(VALU_DEP_1) | instskip(NEXT) | instid1(VALU_DEP_1)
	v_div_fmas_f32 v32, v32, v33, v36
	v_div_fixup_f32 v22, v32, v22, 1.0
.LBB7_15:
	s_or_b32 exec_lo, exec_lo, s2
	v_dual_mov_b32 v32, 0 :: v_dual_and_b32 v33, 0xffff0000, v23
	v_mov_b32_e32 v23, 0
	s_mov_b32 s2, exec_lo
	s_delay_alu instid0(VALU_DEP_2)
	v_cmpx_o_f32_e32 v33, v33
	s_cbranch_execz .LBB7_17
; %bb.16:
	v_mul_f32_e32 v32, 0xbfb8aa3b, v33
	v_cmp_nlt_f32_e32 vcc_lo, 0x42ce8ed0, v33
	s_delay_alu instid0(VALU_DEP_2) | instskip(SKIP_1) | instid1(VALU_DEP_2)
	v_rndne_f32_e32 v35, v32
	v_fma_f32 v36, 0xbfb8aa3b, v33, -v32
	v_sub_f32_e32 v32, v32, v35
	s_delay_alu instid0(VALU_DEP_2) | instskip(SKIP_1) | instid1(VALU_DEP_2)
	v_fmamk_f32 v36, v33, 0xb2a5705f, v36
	v_cvt_i32_f32_e32 v35, v35
	v_add_f32_e32 v32, v32, v36
	s_delay_alu instid0(VALU_DEP_1) | instskip(SKIP_2) | instid1(VALU_DEP_1)
	v_exp_f32_e32 v32, v32
	s_waitcnt_depctr 0xfff
	v_ldexp_f32 v32, v32, v35
	v_cndmask_b32_e32 v32, 0, v32, vcc_lo
	v_cmp_ngt_f32_e32 vcc_lo, 0xc2b17218, v33
	s_delay_alu instid0(VALU_DEP_2) | instskip(NEXT) | instid1(VALU_DEP_1)
	v_cndmask_b32_e32 v32, 0x7f800000, v32, vcc_lo
	v_add_f32_e32 v32, 1.0, v32
	s_delay_alu instid0(VALU_DEP_1) | instskip(NEXT) | instid1(VALU_DEP_1)
	v_div_scale_f32 v33, null, v32, v32, 1.0
	v_rcp_f32_e32 v35, v33
	s_waitcnt_depctr 0xfff
	v_fma_f32 v36, -v33, v35, 1.0
	s_delay_alu instid0(VALU_DEP_1) | instskip(SKIP_1) | instid1(VALU_DEP_1)
	v_fmac_f32_e32 v35, v36, v35
	v_div_scale_f32 v36, vcc_lo, 1.0, v32, 1.0
	v_mul_f32_e32 v37, v36, v35
	s_delay_alu instid0(VALU_DEP_1) | instskip(NEXT) | instid1(VALU_DEP_1)
	v_fma_f32 v38, -v33, v37, v36
	v_fmac_f32_e32 v37, v38, v35
	s_delay_alu instid0(VALU_DEP_1) | instskip(NEXT) | instid1(VALU_DEP_1)
	v_fma_f32 v33, -v33, v37, v36
	v_div_fmas_f32 v33, v33, v35, v37
	s_delay_alu instid0(VALU_DEP_1)
	v_div_fixup_f32 v32, v33, v32, 1.0
.LBB7_17:
	s_or_b32 exec_lo, exec_lo, s2
	s_waitcnt vmcnt(4)
	v_lshlrev_b32_e32 v33, 16, v16
	s_mov_b32 s2, exec_lo
	s_delay_alu instid0(VALU_DEP_1)
	v_cmpx_o_f32_e32 v33, v33
	s_cbranch_execz .LBB7_19
; %bb.18:
	v_mul_f32_e32 v23, 0xbfb8aa3b, v33
	v_cmp_nlt_f32_e32 vcc_lo, 0x42ce8ed0, v33
	s_delay_alu instid0(VALU_DEP_2) | instskip(SKIP_1) | instid1(VALU_DEP_1)
	v_rndne_f32_e32 v35, v23
	v_fma_f32 v36, 0xbfb8aa3b, v33, -v23
	v_dual_sub_f32 v23, v23, v35 :: v_dual_fmamk_f32 v36, v33, 0xb2a5705f, v36
	v_cvt_i32_f32_e32 v35, v35
	s_delay_alu instid0(VALU_DEP_2) | instskip(NEXT) | instid1(VALU_DEP_1)
	v_add_f32_e32 v23, v23, v36
	v_exp_f32_e32 v23, v23
	s_waitcnt_depctr 0xfff
	v_ldexp_f32 v23, v23, v35
	s_delay_alu instid0(VALU_DEP_1) | instskip(SKIP_1) | instid1(VALU_DEP_2)
	v_cndmask_b32_e32 v23, 0, v23, vcc_lo
	v_cmp_ngt_f32_e32 vcc_lo, 0xc2b17218, v33
	v_cndmask_b32_e32 v23, 0x7f800000, v23, vcc_lo
	s_delay_alu instid0(VALU_DEP_1) | instskip(NEXT) | instid1(VALU_DEP_1)
	v_add_f32_e32 v23, 1.0, v23
	v_div_scale_f32 v33, null, v23, v23, 1.0
	s_delay_alu instid0(VALU_DEP_1) | instskip(SKIP_2) | instid1(VALU_DEP_1)
	v_rcp_f32_e32 v35, v33
	s_waitcnt_depctr 0xfff
	v_fma_f32 v36, -v33, v35, 1.0
	v_fmac_f32_e32 v35, v36, v35
	v_div_scale_f32 v36, vcc_lo, 1.0, v23, 1.0
	s_delay_alu instid0(VALU_DEP_1) | instskip(NEXT) | instid1(VALU_DEP_1)
	v_mul_f32_e32 v37, v36, v35
	v_fma_f32 v38, -v33, v37, v36
	s_delay_alu instid0(VALU_DEP_1) | instskip(NEXT) | instid1(VALU_DEP_1)
	v_fmac_f32_e32 v37, v38, v35
	v_fma_f32 v33, -v33, v37, v36
	s_delay_alu instid0(VALU_DEP_1) | instskip(NEXT) | instid1(VALU_DEP_1)
	v_div_fmas_f32 v33, v33, v35, v37
	v_div_fixup_f32 v23, v33, v23, 1.0
.LBB7_19:
	s_or_b32 exec_lo, exec_lo, s2
	v_dual_mov_b32 v16, 0 :: v_dual_and_b32 v35, 0xffff0000, v16
	v_mov_b32_e32 v33, 0
	s_mov_b32 s2, exec_lo
	s_delay_alu instid0(VALU_DEP_2)
	v_cmpx_o_f32_e32 v35, v35
	s_cbranch_execz .LBB7_21
; %bb.20:
	v_mul_f32_e32 v33, 0xbfb8aa3b, v35
	v_cmp_nlt_f32_e32 vcc_lo, 0x42ce8ed0, v35
	s_delay_alu instid0(VALU_DEP_2) | instskip(SKIP_1) | instid1(VALU_DEP_2)
	v_rndne_f32_e32 v36, v33
	v_fma_f32 v37, 0xbfb8aa3b, v35, -v33
	v_sub_f32_e32 v33, v33, v36
	s_delay_alu instid0(VALU_DEP_2) | instskip(SKIP_1) | instid1(VALU_DEP_2)
	v_fmamk_f32 v37, v35, 0xb2a5705f, v37
	v_cvt_i32_f32_e32 v36, v36
	v_add_f32_e32 v33, v33, v37
	s_delay_alu instid0(VALU_DEP_1) | instskip(SKIP_2) | instid1(VALU_DEP_1)
	v_exp_f32_e32 v33, v33
	s_waitcnt_depctr 0xfff
	v_ldexp_f32 v33, v33, v36
	v_cndmask_b32_e32 v33, 0, v33, vcc_lo
	v_cmp_ngt_f32_e32 vcc_lo, 0xc2b17218, v35
	s_delay_alu instid0(VALU_DEP_2) | instskip(NEXT) | instid1(VALU_DEP_1)
	v_cndmask_b32_e32 v33, 0x7f800000, v33, vcc_lo
	v_add_f32_e32 v33, 1.0, v33
	s_delay_alu instid0(VALU_DEP_1) | instskip(NEXT) | instid1(VALU_DEP_1)
	v_div_scale_f32 v35, null, v33, v33, 1.0
	v_rcp_f32_e32 v36, v35
	s_waitcnt_depctr 0xfff
	v_fma_f32 v37, -v35, v36, 1.0
	s_delay_alu instid0(VALU_DEP_1) | instskip(SKIP_1) | instid1(VALU_DEP_1)
	v_fmac_f32_e32 v36, v37, v36
	v_div_scale_f32 v37, vcc_lo, 1.0, v33, 1.0
	v_mul_f32_e32 v38, v37, v36
	s_delay_alu instid0(VALU_DEP_1) | instskip(NEXT) | instid1(VALU_DEP_1)
	v_fma_f32 v39, -v35, v38, v37
	v_fmac_f32_e32 v38, v39, v36
	s_delay_alu instid0(VALU_DEP_1) | instskip(NEXT) | instid1(VALU_DEP_1)
	v_fma_f32 v35, -v35, v38, v37
	v_div_fmas_f32 v35, v35, v36, v38
	s_delay_alu instid0(VALU_DEP_1)
	v_div_fixup_f32 v33, v35, v33, 1.0
.LBB7_21:
	s_or_b32 exec_lo, exec_lo, s2
	v_lshlrev_b32_e32 v35, 16, v17
	s_mov_b32 s2, exec_lo
	s_delay_alu instid0(VALU_DEP_1)
	v_cmpx_o_f32_e32 v35, v35
	s_cbranch_execz .LBB7_23
; %bb.22:
	v_mul_f32_e32 v16, 0xbfb8aa3b, v35
	v_cmp_nlt_f32_e32 vcc_lo, 0x42ce8ed0, v35
	s_delay_alu instid0(VALU_DEP_2) | instskip(SKIP_1) | instid1(VALU_DEP_1)
	v_rndne_f32_e32 v36, v16
	v_fma_f32 v37, 0xbfb8aa3b, v35, -v16
	v_dual_sub_f32 v16, v16, v36 :: v_dual_fmamk_f32 v37, v35, 0xb2a5705f, v37
	v_cvt_i32_f32_e32 v36, v36
	s_delay_alu instid0(VALU_DEP_2) | instskip(NEXT) | instid1(VALU_DEP_1)
	v_add_f32_e32 v16, v16, v37
	v_exp_f32_e32 v16, v16
	s_waitcnt_depctr 0xfff
	v_ldexp_f32 v16, v16, v36
	s_delay_alu instid0(VALU_DEP_1) | instskip(SKIP_1) | instid1(VALU_DEP_2)
	v_cndmask_b32_e32 v16, 0, v16, vcc_lo
	v_cmp_ngt_f32_e32 vcc_lo, 0xc2b17218, v35
	v_cndmask_b32_e32 v16, 0x7f800000, v16, vcc_lo
	s_delay_alu instid0(VALU_DEP_1) | instskip(NEXT) | instid1(VALU_DEP_1)
	v_add_f32_e32 v16, 1.0, v16
	v_div_scale_f32 v35, null, v16, v16, 1.0
	s_delay_alu instid0(VALU_DEP_1) | instskip(SKIP_2) | instid1(VALU_DEP_1)
	v_rcp_f32_e32 v36, v35
	s_waitcnt_depctr 0xfff
	v_fma_f32 v37, -v35, v36, 1.0
	v_fmac_f32_e32 v36, v37, v36
	v_div_scale_f32 v37, vcc_lo, 1.0, v16, 1.0
	s_delay_alu instid0(VALU_DEP_1) | instskip(NEXT) | instid1(VALU_DEP_1)
	v_mul_f32_e32 v38, v37, v36
	v_fma_f32 v39, -v35, v38, v37
	s_delay_alu instid0(VALU_DEP_1) | instskip(NEXT) | instid1(VALU_DEP_1)
	v_fmac_f32_e32 v38, v39, v36
	v_fma_f32 v35, -v35, v38, v37
	s_delay_alu instid0(VALU_DEP_1) | instskip(NEXT) | instid1(VALU_DEP_1)
	v_div_fmas_f32 v35, v35, v36, v38
	v_div_fixup_f32 v16, v35, v16, 1.0
.LBB7_23:
	s_or_b32 exec_lo, exec_lo, s2
	v_dual_mov_b32 v17, 0 :: v_dual_and_b32 v36, 0xffff0000, v17
	v_mov_b32_e32 v35, 0
	s_mov_b32 s2, exec_lo
	s_delay_alu instid0(VALU_DEP_2)
	v_cmpx_o_f32_e32 v36, v36
	s_cbranch_execz .LBB7_25
; %bb.24:
	v_mul_f32_e32 v35, 0xbfb8aa3b, v36
	v_cmp_nlt_f32_e32 vcc_lo, 0x42ce8ed0, v36
	s_delay_alu instid0(VALU_DEP_2) | instskip(SKIP_1) | instid1(VALU_DEP_1)
	v_rndne_f32_e32 v37, v35
	v_fma_f32 v38, 0xbfb8aa3b, v36, -v35
	v_dual_sub_f32 v35, v35, v37 :: v_dual_fmamk_f32 v38, v36, 0xb2a5705f, v38
	v_cvt_i32_f32_e32 v37, v37
	s_delay_alu instid0(VALU_DEP_2) | instskip(NEXT) | instid1(VALU_DEP_1)
	v_add_f32_e32 v35, v35, v38
	v_exp_f32_e32 v35, v35
	s_waitcnt_depctr 0xfff
	v_ldexp_f32 v35, v35, v37
	s_delay_alu instid0(VALU_DEP_1) | instskip(SKIP_1) | instid1(VALU_DEP_2)
	v_cndmask_b32_e32 v35, 0, v35, vcc_lo
	v_cmp_ngt_f32_e32 vcc_lo, 0xc2b17218, v36
	v_cndmask_b32_e32 v35, 0x7f800000, v35, vcc_lo
	s_delay_alu instid0(VALU_DEP_1) | instskip(NEXT) | instid1(VALU_DEP_1)
	v_add_f32_e32 v35, 1.0, v35
	v_div_scale_f32 v36, null, v35, v35, 1.0
	s_delay_alu instid0(VALU_DEP_1) | instskip(SKIP_2) | instid1(VALU_DEP_1)
	v_rcp_f32_e32 v37, v36
	s_waitcnt_depctr 0xfff
	v_fma_f32 v38, -v36, v37, 1.0
	v_fmac_f32_e32 v37, v38, v37
	v_div_scale_f32 v38, vcc_lo, 1.0, v35, 1.0
	s_delay_alu instid0(VALU_DEP_1) | instskip(NEXT) | instid1(VALU_DEP_1)
	v_mul_f32_e32 v39, v38, v37
	v_fma_f32 v40, -v36, v39, v38
	s_delay_alu instid0(VALU_DEP_1) | instskip(NEXT) | instid1(VALU_DEP_1)
	v_fmac_f32_e32 v39, v40, v37
	v_fma_f32 v36, -v36, v39, v38
	s_delay_alu instid0(VALU_DEP_1) | instskip(NEXT) | instid1(VALU_DEP_1)
	v_div_fmas_f32 v36, v36, v37, v39
	v_div_fixup_f32 v35, v36, v35, 1.0
.LBB7_25:
	s_or_b32 exec_lo, exec_lo, s2
	v_lshlrev_b32_e32 v36, 16, v18
	s_mov_b32 s2, exec_lo
	s_delay_alu instid0(VALU_DEP_1)
	v_cmpx_o_f32_e32 v36, v36
	s_cbranch_execz .LBB7_27
; %bb.26:
	v_mul_f32_e32 v17, 0xbfb8aa3b, v36
	v_cmp_nlt_f32_e32 vcc_lo, 0x42ce8ed0, v36
	s_delay_alu instid0(VALU_DEP_2) | instskip(SKIP_1) | instid1(VALU_DEP_1)
	v_rndne_f32_e32 v37, v17
	v_fma_f32 v38, 0xbfb8aa3b, v36, -v17
	v_dual_sub_f32 v17, v17, v37 :: v_dual_fmamk_f32 v38, v36, 0xb2a5705f, v38
	v_cvt_i32_f32_e32 v37, v37
	s_delay_alu instid0(VALU_DEP_2) | instskip(NEXT) | instid1(VALU_DEP_1)
	v_add_f32_e32 v17, v17, v38
	v_exp_f32_e32 v17, v17
	s_waitcnt_depctr 0xfff
	v_ldexp_f32 v17, v17, v37
	s_delay_alu instid0(VALU_DEP_1) | instskip(SKIP_1) | instid1(VALU_DEP_2)
	v_cndmask_b32_e32 v17, 0, v17, vcc_lo
	v_cmp_ngt_f32_e32 vcc_lo, 0xc2b17218, v36
	v_cndmask_b32_e32 v17, 0x7f800000, v17, vcc_lo
	s_delay_alu instid0(VALU_DEP_1) | instskip(NEXT) | instid1(VALU_DEP_1)
	v_add_f32_e32 v17, 1.0, v17
	v_div_scale_f32 v36, null, v17, v17, 1.0
	s_delay_alu instid0(VALU_DEP_1) | instskip(SKIP_2) | instid1(VALU_DEP_1)
	v_rcp_f32_e32 v37, v36
	s_waitcnt_depctr 0xfff
	v_fma_f32 v38, -v36, v37, 1.0
	v_fmac_f32_e32 v37, v38, v37
	v_div_scale_f32 v38, vcc_lo, 1.0, v17, 1.0
	s_delay_alu instid0(VALU_DEP_1) | instskip(NEXT) | instid1(VALU_DEP_1)
	v_mul_f32_e32 v39, v38, v37
	v_fma_f32 v40, -v36, v39, v38
	s_delay_alu instid0(VALU_DEP_1) | instskip(NEXT) | instid1(VALU_DEP_1)
	v_fmac_f32_e32 v39, v40, v37
	v_fma_f32 v36, -v36, v39, v38
	s_delay_alu instid0(VALU_DEP_1) | instskip(NEXT) | instid1(VALU_DEP_1)
	v_div_fmas_f32 v36, v36, v37, v39
	v_div_fixup_f32 v17, v36, v17, 1.0
.LBB7_27:
	s_or_b32 exec_lo, exec_lo, s2
	v_dual_mov_b32 v18, 0 :: v_dual_and_b32 v37, 0xffff0000, v18
	v_mov_b32_e32 v36, 0
	s_mov_b32 s2, exec_lo
	s_delay_alu instid0(VALU_DEP_2)
	v_cmpx_o_f32_e32 v37, v37
	s_cbranch_execz .LBB7_29
; %bb.28:
	v_mul_f32_e32 v36, 0xbfb8aa3b, v37
	v_cmp_nlt_f32_e32 vcc_lo, 0x42ce8ed0, v37
	s_delay_alu instid0(VALU_DEP_2) | instskip(SKIP_1) | instid1(VALU_DEP_1)
	v_rndne_f32_e32 v38, v36
	v_fma_f32 v39, 0xbfb8aa3b, v37, -v36
	v_dual_sub_f32 v36, v36, v38 :: v_dual_fmamk_f32 v39, v37, 0xb2a5705f, v39
	v_cvt_i32_f32_e32 v38, v38
	s_delay_alu instid0(VALU_DEP_2) | instskip(NEXT) | instid1(VALU_DEP_1)
	v_add_f32_e32 v36, v36, v39
	v_exp_f32_e32 v36, v36
	s_waitcnt_depctr 0xfff
	v_ldexp_f32 v36, v36, v38
	s_delay_alu instid0(VALU_DEP_1) | instskip(SKIP_1) | instid1(VALU_DEP_2)
	v_cndmask_b32_e32 v36, 0, v36, vcc_lo
	v_cmp_ngt_f32_e32 vcc_lo, 0xc2b17218, v37
	v_cndmask_b32_e32 v36, 0x7f800000, v36, vcc_lo
	s_delay_alu instid0(VALU_DEP_1) | instskip(NEXT) | instid1(VALU_DEP_1)
	v_add_f32_e32 v36, 1.0, v36
	v_div_scale_f32 v37, null, v36, v36, 1.0
	s_delay_alu instid0(VALU_DEP_1) | instskip(SKIP_2) | instid1(VALU_DEP_1)
	v_rcp_f32_e32 v38, v37
	s_waitcnt_depctr 0xfff
	v_fma_f32 v39, -v37, v38, 1.0
	v_fmac_f32_e32 v38, v39, v38
	v_div_scale_f32 v39, vcc_lo, 1.0, v36, 1.0
	s_delay_alu instid0(VALU_DEP_1) | instskip(NEXT) | instid1(VALU_DEP_1)
	v_mul_f32_e32 v40, v39, v38
	v_fma_f32 v41, -v37, v40, v39
	s_delay_alu instid0(VALU_DEP_1) | instskip(NEXT) | instid1(VALU_DEP_1)
	v_fmac_f32_e32 v40, v41, v38
	v_fma_f32 v37, -v37, v40, v39
	s_delay_alu instid0(VALU_DEP_1) | instskip(NEXT) | instid1(VALU_DEP_1)
	v_div_fmas_f32 v37, v37, v38, v40
	v_div_fixup_f32 v36, v37, v36, 1.0
.LBB7_29:
	s_or_b32 exec_lo, exec_lo, s2
	v_lshlrev_b32_e32 v37, 16, v19
	s_mov_b32 s2, exec_lo
	s_delay_alu instid0(VALU_DEP_1)
	v_cmpx_o_f32_e32 v37, v37
	s_cbranch_execz .LBB7_31
; %bb.30:
	v_mul_f32_e32 v18, 0xbfb8aa3b, v37
	v_cmp_nlt_f32_e32 vcc_lo, 0x42ce8ed0, v37
	s_delay_alu instid0(VALU_DEP_2) | instskip(SKIP_1) | instid1(VALU_DEP_1)
	v_rndne_f32_e32 v38, v18
	v_fma_f32 v39, 0xbfb8aa3b, v37, -v18
	v_dual_sub_f32 v18, v18, v38 :: v_dual_fmamk_f32 v39, v37, 0xb2a5705f, v39
	v_cvt_i32_f32_e32 v38, v38
	s_delay_alu instid0(VALU_DEP_2) | instskip(NEXT) | instid1(VALU_DEP_1)
	v_add_f32_e32 v18, v18, v39
	v_exp_f32_e32 v18, v18
	s_waitcnt_depctr 0xfff
	v_ldexp_f32 v18, v18, v38
	s_delay_alu instid0(VALU_DEP_1) | instskip(SKIP_1) | instid1(VALU_DEP_2)
	v_cndmask_b32_e32 v18, 0, v18, vcc_lo
	v_cmp_ngt_f32_e32 vcc_lo, 0xc2b17218, v37
	v_cndmask_b32_e32 v18, 0x7f800000, v18, vcc_lo
	s_delay_alu instid0(VALU_DEP_1) | instskip(NEXT) | instid1(VALU_DEP_1)
	v_add_f32_e32 v18, 1.0, v18
	v_div_scale_f32 v37, null, v18, v18, 1.0
	s_delay_alu instid0(VALU_DEP_1) | instskip(SKIP_2) | instid1(VALU_DEP_1)
	v_rcp_f32_e32 v38, v37
	s_waitcnt_depctr 0xfff
	v_fma_f32 v39, -v37, v38, 1.0
	v_fmac_f32_e32 v38, v39, v38
	v_div_scale_f32 v39, vcc_lo, 1.0, v18, 1.0
	s_delay_alu instid0(VALU_DEP_1) | instskip(NEXT) | instid1(VALU_DEP_1)
	v_mul_f32_e32 v40, v39, v38
	v_fma_f32 v41, -v37, v40, v39
	s_delay_alu instid0(VALU_DEP_1) | instskip(NEXT) | instid1(VALU_DEP_1)
	v_fmac_f32_e32 v40, v41, v38
	v_fma_f32 v37, -v37, v40, v39
	s_delay_alu instid0(VALU_DEP_1) | instskip(NEXT) | instid1(VALU_DEP_1)
	v_div_fmas_f32 v37, v37, v38, v40
	v_div_fixup_f32 v18, v37, v18, 1.0
.LBB7_31:
	s_or_b32 exec_lo, exec_lo, s2
	v_dual_mov_b32 v19, 0 :: v_dual_and_b32 v38, 0xffff0000, v19
	v_mov_b32_e32 v37, 0
	s_mov_b32 s2, exec_lo
	s_delay_alu instid0(VALU_DEP_2)
	v_cmpx_o_f32_e32 v38, v38
	s_cbranch_execz .LBB7_33
; %bb.32:
	v_mul_f32_e32 v37, 0xbfb8aa3b, v38
	v_cmp_nlt_f32_e32 vcc_lo, 0x42ce8ed0, v38
	s_delay_alu instid0(VALU_DEP_2) | instskip(SKIP_1) | instid1(VALU_DEP_1)
	v_rndne_f32_e32 v39, v37
	v_fma_f32 v40, 0xbfb8aa3b, v38, -v37
	v_dual_sub_f32 v37, v37, v39 :: v_dual_fmamk_f32 v40, v38, 0xb2a5705f, v40
	v_cvt_i32_f32_e32 v39, v39
	s_delay_alu instid0(VALU_DEP_2) | instskip(NEXT) | instid1(VALU_DEP_1)
	v_add_f32_e32 v37, v37, v40
	v_exp_f32_e32 v37, v37
	s_waitcnt_depctr 0xfff
	v_ldexp_f32 v37, v37, v39
	s_delay_alu instid0(VALU_DEP_1) | instskip(SKIP_1) | instid1(VALU_DEP_2)
	v_cndmask_b32_e32 v37, 0, v37, vcc_lo
	v_cmp_ngt_f32_e32 vcc_lo, 0xc2b17218, v38
	v_cndmask_b32_e32 v37, 0x7f800000, v37, vcc_lo
	s_delay_alu instid0(VALU_DEP_1) | instskip(NEXT) | instid1(VALU_DEP_1)
	v_add_f32_e32 v37, 1.0, v37
	v_div_scale_f32 v38, null, v37, v37, 1.0
	s_delay_alu instid0(VALU_DEP_1) | instskip(SKIP_2) | instid1(VALU_DEP_1)
	v_rcp_f32_e32 v39, v38
	s_waitcnt_depctr 0xfff
	v_fma_f32 v40, -v38, v39, 1.0
	v_fmac_f32_e32 v39, v40, v39
	v_div_scale_f32 v40, vcc_lo, 1.0, v37, 1.0
	s_delay_alu instid0(VALU_DEP_1) | instskip(NEXT) | instid1(VALU_DEP_1)
	v_mul_f32_e32 v41, v40, v39
	v_fma_f32 v42, -v38, v41, v40
	s_delay_alu instid0(VALU_DEP_1) | instskip(NEXT) | instid1(VALU_DEP_1)
	v_fmac_f32_e32 v41, v42, v39
	v_fma_f32 v38, -v38, v41, v40
	s_delay_alu instid0(VALU_DEP_1) | instskip(NEXT) | instid1(VALU_DEP_1)
	v_div_fmas_f32 v38, v38, v39, v41
	v_div_fixup_f32 v37, v38, v37, 1.0
.LBB7_33:
	s_or_b32 exec_lo, exec_lo, s2
	s_waitcnt vmcnt(3)
	v_lshlrev_b32_e32 v38, 16, v12
	s_mov_b32 s2, exec_lo
	s_delay_alu instid0(VALU_DEP_1)
	v_cmpx_o_f32_e32 v38, v38
	s_cbranch_execz .LBB7_35
; %bb.34:
	v_mul_f32_e32 v19, 0xbfb8aa3b, v38
	v_cmp_nlt_f32_e32 vcc_lo, 0x42ce8ed0, v38
	s_delay_alu instid0(VALU_DEP_2) | instskip(SKIP_1) | instid1(VALU_DEP_1)
	v_rndne_f32_e32 v39, v19
	v_fma_f32 v40, 0xbfb8aa3b, v38, -v19
	v_dual_sub_f32 v19, v19, v39 :: v_dual_fmamk_f32 v40, v38, 0xb2a5705f, v40
	v_cvt_i32_f32_e32 v39, v39
	s_delay_alu instid0(VALU_DEP_2) | instskip(NEXT) | instid1(VALU_DEP_1)
	v_add_f32_e32 v19, v19, v40
	v_exp_f32_e32 v19, v19
	s_waitcnt_depctr 0xfff
	v_ldexp_f32 v19, v19, v39
	s_delay_alu instid0(VALU_DEP_1) | instskip(SKIP_1) | instid1(VALU_DEP_2)
	v_cndmask_b32_e32 v19, 0, v19, vcc_lo
	v_cmp_ngt_f32_e32 vcc_lo, 0xc2b17218, v38
	v_cndmask_b32_e32 v19, 0x7f800000, v19, vcc_lo
	s_delay_alu instid0(VALU_DEP_1) | instskip(NEXT) | instid1(VALU_DEP_1)
	v_add_f32_e32 v19, 1.0, v19
	v_div_scale_f32 v38, null, v19, v19, 1.0
	s_delay_alu instid0(VALU_DEP_1) | instskip(SKIP_2) | instid1(VALU_DEP_1)
	v_rcp_f32_e32 v39, v38
	s_waitcnt_depctr 0xfff
	v_fma_f32 v40, -v38, v39, 1.0
	v_fmac_f32_e32 v39, v40, v39
	v_div_scale_f32 v40, vcc_lo, 1.0, v19, 1.0
	s_delay_alu instid0(VALU_DEP_1) | instskip(NEXT) | instid1(VALU_DEP_1)
	v_mul_f32_e32 v41, v40, v39
	v_fma_f32 v42, -v38, v41, v40
	s_delay_alu instid0(VALU_DEP_1) | instskip(NEXT) | instid1(VALU_DEP_1)
	v_fmac_f32_e32 v41, v42, v39
	v_fma_f32 v38, -v38, v41, v40
	s_delay_alu instid0(VALU_DEP_1) | instskip(NEXT) | instid1(VALU_DEP_1)
	v_div_fmas_f32 v38, v38, v39, v41
	v_div_fixup_f32 v19, v38, v19, 1.0
.LBB7_35:
	s_or_b32 exec_lo, exec_lo, s2
	v_dual_mov_b32 v12, 0 :: v_dual_and_b32 v39, 0xffff0000, v12
	v_mov_b32_e32 v38, 0
	s_mov_b32 s2, exec_lo
	s_delay_alu instid0(VALU_DEP_2)
	v_cmpx_o_f32_e32 v39, v39
	s_cbranch_execz .LBB7_37
; %bb.36:
	v_mul_f32_e32 v38, 0xbfb8aa3b, v39
	v_cmp_nlt_f32_e32 vcc_lo, 0x42ce8ed0, v39
	s_delay_alu instid0(VALU_DEP_2) | instskip(SKIP_1) | instid1(VALU_DEP_1)
	v_rndne_f32_e32 v40, v38
	v_fma_f32 v41, 0xbfb8aa3b, v39, -v38
	v_dual_sub_f32 v38, v38, v40 :: v_dual_fmamk_f32 v41, v39, 0xb2a5705f, v41
	v_cvt_i32_f32_e32 v40, v40
	s_delay_alu instid0(VALU_DEP_2) | instskip(NEXT) | instid1(VALU_DEP_1)
	v_add_f32_e32 v38, v38, v41
	v_exp_f32_e32 v38, v38
	s_waitcnt_depctr 0xfff
	v_ldexp_f32 v38, v38, v40
	s_delay_alu instid0(VALU_DEP_1) | instskip(SKIP_1) | instid1(VALU_DEP_2)
	v_cndmask_b32_e32 v38, 0, v38, vcc_lo
	v_cmp_ngt_f32_e32 vcc_lo, 0xc2b17218, v39
	v_cndmask_b32_e32 v38, 0x7f800000, v38, vcc_lo
	s_delay_alu instid0(VALU_DEP_1) | instskip(NEXT) | instid1(VALU_DEP_1)
	v_add_f32_e32 v38, 1.0, v38
	v_div_scale_f32 v39, null, v38, v38, 1.0
	s_delay_alu instid0(VALU_DEP_1) | instskip(SKIP_2) | instid1(VALU_DEP_1)
	v_rcp_f32_e32 v40, v39
	s_waitcnt_depctr 0xfff
	v_fma_f32 v41, -v39, v40, 1.0
	v_fmac_f32_e32 v40, v41, v40
	v_div_scale_f32 v41, vcc_lo, 1.0, v38, 1.0
	s_delay_alu instid0(VALU_DEP_1) | instskip(NEXT) | instid1(VALU_DEP_1)
	v_mul_f32_e32 v42, v41, v40
	v_fma_f32 v43, -v39, v42, v41
	s_delay_alu instid0(VALU_DEP_1) | instskip(NEXT) | instid1(VALU_DEP_1)
	v_fmac_f32_e32 v42, v43, v40
	v_fma_f32 v39, -v39, v42, v41
	s_delay_alu instid0(VALU_DEP_1) | instskip(NEXT) | instid1(VALU_DEP_1)
	v_div_fmas_f32 v39, v39, v40, v42
	v_div_fixup_f32 v38, v39, v38, 1.0
.LBB7_37:
	s_or_b32 exec_lo, exec_lo, s2
	v_lshlrev_b32_e32 v39, 16, v13
	s_mov_b32 s2, exec_lo
	s_delay_alu instid0(VALU_DEP_1)
	v_cmpx_o_f32_e32 v39, v39
	s_cbranch_execz .LBB7_39
; %bb.38:
	v_mul_f32_e32 v12, 0xbfb8aa3b, v39
	v_cmp_nlt_f32_e32 vcc_lo, 0x42ce8ed0, v39
	s_delay_alu instid0(VALU_DEP_2) | instskip(SKIP_1) | instid1(VALU_DEP_1)
	v_rndne_f32_e32 v40, v12
	v_fma_f32 v41, 0xbfb8aa3b, v39, -v12
	v_dual_sub_f32 v12, v12, v40 :: v_dual_fmamk_f32 v41, v39, 0xb2a5705f, v41
	v_cvt_i32_f32_e32 v40, v40
	s_delay_alu instid0(VALU_DEP_2) | instskip(NEXT) | instid1(VALU_DEP_1)
	v_add_f32_e32 v12, v12, v41
	v_exp_f32_e32 v12, v12
	s_waitcnt_depctr 0xfff
	v_ldexp_f32 v12, v12, v40
	s_delay_alu instid0(VALU_DEP_1) | instskip(SKIP_1) | instid1(VALU_DEP_2)
	v_cndmask_b32_e32 v12, 0, v12, vcc_lo
	v_cmp_ngt_f32_e32 vcc_lo, 0xc2b17218, v39
	v_cndmask_b32_e32 v12, 0x7f800000, v12, vcc_lo
	s_delay_alu instid0(VALU_DEP_1) | instskip(NEXT) | instid1(VALU_DEP_1)
	v_add_f32_e32 v12, 1.0, v12
	v_div_scale_f32 v39, null, v12, v12, 1.0
	s_delay_alu instid0(VALU_DEP_1) | instskip(SKIP_2) | instid1(VALU_DEP_1)
	v_rcp_f32_e32 v40, v39
	s_waitcnt_depctr 0xfff
	v_fma_f32 v41, -v39, v40, 1.0
	v_fmac_f32_e32 v40, v41, v40
	v_div_scale_f32 v41, vcc_lo, 1.0, v12, 1.0
	s_delay_alu instid0(VALU_DEP_1) | instskip(NEXT) | instid1(VALU_DEP_1)
	v_mul_f32_e32 v42, v41, v40
	v_fma_f32 v43, -v39, v42, v41
	s_delay_alu instid0(VALU_DEP_1) | instskip(NEXT) | instid1(VALU_DEP_1)
	v_fmac_f32_e32 v42, v43, v40
	v_fma_f32 v39, -v39, v42, v41
	s_delay_alu instid0(VALU_DEP_1) | instskip(NEXT) | instid1(VALU_DEP_1)
	v_div_fmas_f32 v39, v39, v40, v42
	v_div_fixup_f32 v12, v39, v12, 1.0
.LBB7_39:
	s_or_b32 exec_lo, exec_lo, s2
	v_dual_mov_b32 v13, 0 :: v_dual_and_b32 v40, 0xffff0000, v13
	v_mov_b32_e32 v39, 0
	s_mov_b32 s2, exec_lo
	s_delay_alu instid0(VALU_DEP_2)
	v_cmpx_o_f32_e32 v40, v40
	s_cbranch_execz .LBB7_41
; %bb.40:
	v_mul_f32_e32 v39, 0xbfb8aa3b, v40
	v_cmp_nlt_f32_e32 vcc_lo, 0x42ce8ed0, v40
	s_delay_alu instid0(VALU_DEP_2) | instskip(SKIP_1) | instid1(VALU_DEP_1)
	v_rndne_f32_e32 v41, v39
	v_fma_f32 v42, 0xbfb8aa3b, v40, -v39
	v_dual_sub_f32 v39, v39, v41 :: v_dual_fmamk_f32 v42, v40, 0xb2a5705f, v42
	v_cvt_i32_f32_e32 v41, v41
	s_delay_alu instid0(VALU_DEP_2) | instskip(NEXT) | instid1(VALU_DEP_1)
	v_add_f32_e32 v39, v39, v42
	v_exp_f32_e32 v39, v39
	s_waitcnt_depctr 0xfff
	v_ldexp_f32 v39, v39, v41
	s_delay_alu instid0(VALU_DEP_1) | instskip(SKIP_1) | instid1(VALU_DEP_2)
	v_cndmask_b32_e32 v39, 0, v39, vcc_lo
	v_cmp_ngt_f32_e32 vcc_lo, 0xc2b17218, v40
	v_cndmask_b32_e32 v39, 0x7f800000, v39, vcc_lo
	s_delay_alu instid0(VALU_DEP_1) | instskip(NEXT) | instid1(VALU_DEP_1)
	v_add_f32_e32 v39, 1.0, v39
	v_div_scale_f32 v40, null, v39, v39, 1.0
	s_delay_alu instid0(VALU_DEP_1) | instskip(SKIP_2) | instid1(VALU_DEP_1)
	v_rcp_f32_e32 v41, v40
	s_waitcnt_depctr 0xfff
	v_fma_f32 v42, -v40, v41, 1.0
	v_fmac_f32_e32 v41, v42, v41
	v_div_scale_f32 v42, vcc_lo, 1.0, v39, 1.0
	s_delay_alu instid0(VALU_DEP_1) | instskip(NEXT) | instid1(VALU_DEP_1)
	v_mul_f32_e32 v43, v42, v41
	v_fma_f32 v44, -v40, v43, v42
	s_delay_alu instid0(VALU_DEP_1) | instskip(NEXT) | instid1(VALU_DEP_1)
	v_fmac_f32_e32 v43, v44, v41
	v_fma_f32 v40, -v40, v43, v42
	s_delay_alu instid0(VALU_DEP_1) | instskip(NEXT) | instid1(VALU_DEP_1)
	v_div_fmas_f32 v40, v40, v41, v43
	v_div_fixup_f32 v39, v40, v39, 1.0
.LBB7_41:
	s_or_b32 exec_lo, exec_lo, s2
	v_lshlrev_b32_e32 v40, 16, v14
	s_mov_b32 s2, exec_lo
	s_delay_alu instid0(VALU_DEP_1)
	v_cmpx_o_f32_e32 v40, v40
	s_cbranch_execz .LBB7_43
; %bb.42:
	v_mul_f32_e32 v13, 0xbfb8aa3b, v40
	v_cmp_nlt_f32_e32 vcc_lo, 0x42ce8ed0, v40
	s_delay_alu instid0(VALU_DEP_2) | instskip(SKIP_1) | instid1(VALU_DEP_1)
	v_rndne_f32_e32 v41, v13
	v_fma_f32 v42, 0xbfb8aa3b, v40, -v13
	v_dual_sub_f32 v13, v13, v41 :: v_dual_fmamk_f32 v42, v40, 0xb2a5705f, v42
	v_cvt_i32_f32_e32 v41, v41
	s_delay_alu instid0(VALU_DEP_2) | instskip(NEXT) | instid1(VALU_DEP_1)
	v_add_f32_e32 v13, v13, v42
	v_exp_f32_e32 v13, v13
	s_waitcnt_depctr 0xfff
	v_ldexp_f32 v13, v13, v41
	s_delay_alu instid0(VALU_DEP_1) | instskip(SKIP_1) | instid1(VALU_DEP_2)
	v_cndmask_b32_e32 v13, 0, v13, vcc_lo
	v_cmp_ngt_f32_e32 vcc_lo, 0xc2b17218, v40
	v_cndmask_b32_e32 v13, 0x7f800000, v13, vcc_lo
	s_delay_alu instid0(VALU_DEP_1) | instskip(NEXT) | instid1(VALU_DEP_1)
	v_add_f32_e32 v13, 1.0, v13
	v_div_scale_f32 v40, null, v13, v13, 1.0
	s_delay_alu instid0(VALU_DEP_1) | instskip(SKIP_2) | instid1(VALU_DEP_1)
	v_rcp_f32_e32 v41, v40
	s_waitcnt_depctr 0xfff
	v_fma_f32 v42, -v40, v41, 1.0
	v_fmac_f32_e32 v41, v42, v41
	v_div_scale_f32 v42, vcc_lo, 1.0, v13, 1.0
	s_delay_alu instid0(VALU_DEP_1) | instskip(NEXT) | instid1(VALU_DEP_1)
	v_mul_f32_e32 v43, v42, v41
	v_fma_f32 v44, -v40, v43, v42
	s_delay_alu instid0(VALU_DEP_1) | instskip(NEXT) | instid1(VALU_DEP_1)
	v_fmac_f32_e32 v43, v44, v41
	v_fma_f32 v40, -v40, v43, v42
	s_delay_alu instid0(VALU_DEP_1) | instskip(NEXT) | instid1(VALU_DEP_1)
	v_div_fmas_f32 v40, v40, v41, v43
	v_div_fixup_f32 v13, v40, v13, 1.0
.LBB7_43:
	s_or_b32 exec_lo, exec_lo, s2
	v_dual_mov_b32 v14, 0 :: v_dual_and_b32 v41, 0xffff0000, v14
	v_mov_b32_e32 v40, 0
	s_mov_b32 s2, exec_lo
	s_delay_alu instid0(VALU_DEP_2)
	v_cmpx_o_f32_e32 v41, v41
	s_cbranch_execz .LBB7_45
; %bb.44:
	v_mul_f32_e32 v40, 0xbfb8aa3b, v41
	v_cmp_nlt_f32_e32 vcc_lo, 0x42ce8ed0, v41
	s_delay_alu instid0(VALU_DEP_2) | instskip(SKIP_1) | instid1(VALU_DEP_1)
	v_rndne_f32_e32 v42, v40
	v_fma_f32 v43, 0xbfb8aa3b, v41, -v40
	v_dual_sub_f32 v40, v40, v42 :: v_dual_fmamk_f32 v43, v41, 0xb2a5705f, v43
	v_cvt_i32_f32_e32 v42, v42
	s_delay_alu instid0(VALU_DEP_2) | instskip(NEXT) | instid1(VALU_DEP_1)
	v_add_f32_e32 v40, v40, v43
	v_exp_f32_e32 v40, v40
	s_waitcnt_depctr 0xfff
	v_ldexp_f32 v40, v40, v42
	s_delay_alu instid0(VALU_DEP_1) | instskip(SKIP_1) | instid1(VALU_DEP_2)
	v_cndmask_b32_e32 v40, 0, v40, vcc_lo
	v_cmp_ngt_f32_e32 vcc_lo, 0xc2b17218, v41
	v_cndmask_b32_e32 v40, 0x7f800000, v40, vcc_lo
	s_delay_alu instid0(VALU_DEP_1) | instskip(NEXT) | instid1(VALU_DEP_1)
	v_add_f32_e32 v40, 1.0, v40
	v_div_scale_f32 v41, null, v40, v40, 1.0
	s_delay_alu instid0(VALU_DEP_1) | instskip(SKIP_2) | instid1(VALU_DEP_1)
	v_rcp_f32_e32 v42, v41
	s_waitcnt_depctr 0xfff
	v_fma_f32 v43, -v41, v42, 1.0
	v_fmac_f32_e32 v42, v43, v42
	v_div_scale_f32 v43, vcc_lo, 1.0, v40, 1.0
	s_delay_alu instid0(VALU_DEP_1) | instskip(NEXT) | instid1(VALU_DEP_1)
	v_mul_f32_e32 v44, v43, v42
	v_fma_f32 v45, -v41, v44, v43
	s_delay_alu instid0(VALU_DEP_1) | instskip(NEXT) | instid1(VALU_DEP_1)
	v_fmac_f32_e32 v44, v45, v42
	v_fma_f32 v41, -v41, v44, v43
	s_delay_alu instid0(VALU_DEP_1) | instskip(NEXT) | instid1(VALU_DEP_1)
	v_div_fmas_f32 v41, v41, v42, v44
	v_div_fixup_f32 v40, v41, v40, 1.0
.LBB7_45:
	s_or_b32 exec_lo, exec_lo, s2
	v_lshlrev_b32_e32 v41, 16, v15
	s_mov_b32 s2, exec_lo
	s_delay_alu instid0(VALU_DEP_1)
	v_cmpx_o_f32_e32 v41, v41
	s_cbranch_execz .LBB7_47
; %bb.46:
	v_mul_f32_e32 v14, 0xbfb8aa3b, v41
	v_cmp_nlt_f32_e32 vcc_lo, 0x42ce8ed0, v41
	s_delay_alu instid0(VALU_DEP_2) | instskip(SKIP_1) | instid1(VALU_DEP_1)
	v_rndne_f32_e32 v42, v14
	v_fma_f32 v43, 0xbfb8aa3b, v41, -v14
	v_dual_sub_f32 v14, v14, v42 :: v_dual_fmamk_f32 v43, v41, 0xb2a5705f, v43
	v_cvt_i32_f32_e32 v42, v42
	s_delay_alu instid0(VALU_DEP_2) | instskip(NEXT) | instid1(VALU_DEP_1)
	v_add_f32_e32 v14, v14, v43
	v_exp_f32_e32 v14, v14
	s_waitcnt_depctr 0xfff
	v_ldexp_f32 v14, v14, v42
	s_delay_alu instid0(VALU_DEP_1) | instskip(SKIP_1) | instid1(VALU_DEP_2)
	v_cndmask_b32_e32 v14, 0, v14, vcc_lo
	v_cmp_ngt_f32_e32 vcc_lo, 0xc2b17218, v41
	v_cndmask_b32_e32 v14, 0x7f800000, v14, vcc_lo
	s_delay_alu instid0(VALU_DEP_1) | instskip(NEXT) | instid1(VALU_DEP_1)
	v_add_f32_e32 v14, 1.0, v14
	v_div_scale_f32 v41, null, v14, v14, 1.0
	s_delay_alu instid0(VALU_DEP_1) | instskip(SKIP_2) | instid1(VALU_DEP_1)
	v_rcp_f32_e32 v42, v41
	s_waitcnt_depctr 0xfff
	v_fma_f32 v43, -v41, v42, 1.0
	v_fmac_f32_e32 v42, v43, v42
	v_div_scale_f32 v43, vcc_lo, 1.0, v14, 1.0
	s_delay_alu instid0(VALU_DEP_1) | instskip(NEXT) | instid1(VALU_DEP_1)
	v_mul_f32_e32 v44, v43, v42
	v_fma_f32 v45, -v41, v44, v43
	s_delay_alu instid0(VALU_DEP_1) | instskip(NEXT) | instid1(VALU_DEP_1)
	v_fmac_f32_e32 v44, v45, v42
	v_fma_f32 v41, -v41, v44, v43
	s_delay_alu instid0(VALU_DEP_1) | instskip(NEXT) | instid1(VALU_DEP_1)
	v_div_fmas_f32 v41, v41, v42, v44
	v_div_fixup_f32 v14, v41, v14, 1.0
.LBB7_47:
	s_or_b32 exec_lo, exec_lo, s2
	v_and_b32_e32 v41, 0xffff0000, v15
	v_mov_b32_e32 v15, 0
	s_mov_b32 s2, exec_lo
	s_delay_alu instid0(VALU_DEP_2)
	v_cmpx_o_f32_e32 v41, v41
	s_cbranch_execz .LBB7_49
; %bb.48:
	v_mul_f32_e32 v15, 0xbfb8aa3b, v41
	v_cmp_nlt_f32_e32 vcc_lo, 0x42ce8ed0, v41
	s_delay_alu instid0(VALU_DEP_2) | instskip(SKIP_1) | instid1(VALU_DEP_2)
	v_rndne_f32_e32 v42, v15
	v_fma_f32 v43, 0xbfb8aa3b, v41, -v15
	v_sub_f32_e32 v15, v15, v42
	s_delay_alu instid0(VALU_DEP_2) | instskip(SKIP_1) | instid1(VALU_DEP_2)
	v_fmamk_f32 v43, v41, 0xb2a5705f, v43
	v_cvt_i32_f32_e32 v42, v42
	v_add_f32_e32 v15, v15, v43
	s_delay_alu instid0(VALU_DEP_1) | instskip(SKIP_2) | instid1(VALU_DEP_1)
	v_exp_f32_e32 v15, v15
	s_waitcnt_depctr 0xfff
	v_ldexp_f32 v15, v15, v42
	v_cndmask_b32_e32 v15, 0, v15, vcc_lo
	v_cmp_ngt_f32_e32 vcc_lo, 0xc2b17218, v41
	s_delay_alu instid0(VALU_DEP_2) | instskip(NEXT) | instid1(VALU_DEP_1)
	v_cndmask_b32_e32 v15, 0x7f800000, v15, vcc_lo
	v_add_f32_e32 v15, 1.0, v15
	s_delay_alu instid0(VALU_DEP_1) | instskip(NEXT) | instid1(VALU_DEP_1)
	v_div_scale_f32 v41, null, v15, v15, 1.0
	v_rcp_f32_e32 v42, v41
	s_waitcnt_depctr 0xfff
	v_fma_f32 v43, -v41, v42, 1.0
	s_delay_alu instid0(VALU_DEP_1) | instskip(SKIP_1) | instid1(VALU_DEP_1)
	v_fmac_f32_e32 v42, v43, v42
	v_div_scale_f32 v43, vcc_lo, 1.0, v15, 1.0
	v_mul_f32_e32 v44, v43, v42
	s_delay_alu instid0(VALU_DEP_1) | instskip(NEXT) | instid1(VALU_DEP_1)
	v_fma_f32 v45, -v41, v44, v43
	v_fmac_f32_e32 v44, v45, v42
	s_delay_alu instid0(VALU_DEP_1) | instskip(NEXT) | instid1(VALU_DEP_1)
	v_fma_f32 v41, -v41, v44, v43
	v_div_fmas_f32 v41, v41, v42, v44
	s_delay_alu instid0(VALU_DEP_1)
	v_div_fixup_f32 v15, v41, v15, 1.0
.LBB7_49:
	s_or_b32 exec_lo, exec_lo, s2
	s_waitcnt vmcnt(0)
	v_lshlrev_b32_e32 v41, 16, v8
	v_and_b32_e32 v42, 0xffff0000, v8
	s_mov_b32 s2, exec_lo
	s_delay_alu instid0(VALU_DEP_1) | instskip(NEXT) | instid1(VALU_DEP_1)
	v_dual_add_f32 v8, v28, v41 :: v_dual_add_f32 v41, v29, v42
	v_dual_max_f32 v42, 0xff7fffff, v8 :: v_dual_mov_b32 v45, v41
	s_delay_alu instid0(VALU_DEP_1)
	v_mov_b32_e32 v43, v42
	v_cmpx_ngt_f32_e32 v41, v42
	s_cbranch_execz .LBB7_53
; %bb.50:
	v_mov_b32_e32 v43, 0xff7fffff
	s_mov_b32 s3, exec_lo
	v_cmpx_lt_f32_e32 0xff7fffff, v41
; %bb.51:
	v_mov_b32_e32 v43, v41
; %bb.52:
	s_or_b32 exec_lo, exec_lo, s3
	v_mov_b32_e32 v45, v42
.LBB7_53:
	s_or_b32 exec_lo, exec_lo, s2
	v_lshlrev_b32_e32 v42, 16, v9
	s_delay_alu instid0(VALU_DEP_2) | instskip(SKIP_1) | instid1(VALU_DEP_2)
	v_mov_b32_e32 v44, v45
	s_mov_b32 s2, exec_lo
	v_add_f32_e32 v42, v20, v42
	s_delay_alu instid0(VALU_DEP_1)
	v_mov_b32_e32 v46, v42
	v_cmpx_ngt_f32_e32 v42, v45
	s_cbranch_execz .LBB7_57
; %bb.54:
	s_mov_b32 s3, exec_lo
	v_cmpx_gt_f32_e32 v42, v43
; %bb.55:
	v_mov_b32_e32 v43, v42
; %bb.56:
	s_or_b32 exec_lo, exec_lo, s3
	s_delay_alu instid0(VALU_DEP_1)
	v_mov_b32_e32 v44, v43
	v_mov_b32_e32 v46, v45
.LBB7_57:
	s_or_b32 exec_lo, exec_lo, s2
	v_and_b32_e32 v9, 0xffff0000, v9
	s_delay_alu instid0(VALU_DEP_2) | instskip(SKIP_1) | instid1(VALU_DEP_2)
	v_mov_b32_e32 v45, v46
	s_mov_b32 s2, exec_lo
	v_add_f32_e32 v9, v30, v9
	s_delay_alu instid0(VALU_DEP_1)
	v_mov_b32_e32 v47, v9
	v_cmpx_ngt_f32_e32 v9, v46
	s_cbranch_execz .LBB7_61
; %bb.58:
	s_mov_b32 s3, exec_lo
	v_cmpx_gt_f32_e32 v9, v44
; %bb.59:
	v_mov_b32_e32 v44, v9
; %bb.60:
	s_or_b32 exec_lo, exec_lo, s3
	s_delay_alu instid0(VALU_DEP_1)
	v_mov_b32_e32 v45, v44
	v_mov_b32_e32 v47, v46
.LBB7_61:
	s_or_b32 exec_lo, exec_lo, s2
	s_delay_alu instid0(VALU_DEP_1) | instskip(SKIP_1) | instid1(VALU_DEP_1)
	v_dual_mov_b32 v44, v47 :: v_dual_lshlrev_b32 v43, 16, v10
	s_mov_b32 s2, exec_lo
	v_add_f32_e32 v43, v21, v43
	s_delay_alu instid0(VALU_DEP_1)
	v_mov_b32_e32 v46, v43
	v_cmpx_ngt_f32_e32 v43, v47
	s_cbranch_execz .LBB7_65
; %bb.62:
	s_mov_b32 s3, exec_lo
	v_cmpx_gt_f32_e32 v43, v45
; %bb.63:
	v_mov_b32_e32 v45, v43
; %bb.64:
	s_or_b32 exec_lo, exec_lo, s3
	s_delay_alu instid0(VALU_DEP_1)
	v_mov_b32_e32 v44, v45
	v_mov_b32_e32 v46, v47
.LBB7_65:
	s_or_b32 exec_lo, exec_lo, s2
	s_delay_alu instid0(VALU_DEP_1) | instskip(SKIP_1) | instid1(VALU_DEP_1)
	v_dual_mov_b32 v45, v46 :: v_dual_and_b32 v10, 0xffff0000, v10
	s_mov_b32 s2, exec_lo
	v_add_f32_e32 v10, v31, v10
	s_delay_alu instid0(VALU_DEP_1)
	v_mov_b32_e32 v47, v10
	v_cmpx_ngt_f32_e32 v10, v46
	s_cbranch_execz .LBB7_69
; %bb.66:
	s_mov_b32 s3, exec_lo
	v_cmpx_gt_f32_e32 v10, v44
; %bb.67:
	v_mov_b32_e32 v44, v10
; %bb.68:
	s_or_b32 exec_lo, exec_lo, s3
	s_delay_alu instid0(VALU_DEP_1)
	v_mov_b32_e32 v45, v44
	v_mov_b32_e32 v47, v46
.LBB7_69:
	s_or_b32 exec_lo, exec_lo, s2
	v_lshlrev_b32_e32 v44, 16, v11
	s_delay_alu instid0(VALU_DEP_2) | instskip(SKIP_1) | instid1(VALU_DEP_2)
	v_mov_b32_e32 v46, v47
	s_mov_b32 s2, exec_lo
	v_add_f32_e32 v44, v22, v44
	s_delay_alu instid0(VALU_DEP_1)
	v_mov_b32_e32 v48, v44
	v_cmpx_ngt_f32_e32 v44, v47
	s_cbranch_execz .LBB7_73
; %bb.70:
	s_mov_b32 s3, exec_lo
	v_cmpx_gt_f32_e32 v44, v45
; %bb.71:
	v_mov_b32_e32 v45, v44
; %bb.72:
	s_or_b32 exec_lo, exec_lo, s3
	s_delay_alu instid0(VALU_DEP_1)
	v_mov_b32_e32 v46, v45
	v_mov_b32_e32 v48, v47
.LBB7_73:
	s_or_b32 exec_lo, exec_lo, s2
	v_and_b32_e32 v11, 0xffff0000, v11
	s_delay_alu instid0(VALU_DEP_2) | instskip(SKIP_1) | instid1(VALU_DEP_2)
	v_mov_b32_e32 v47, v48
	s_mov_b32 s2, exec_lo
	v_add_f32_e32 v11, v32, v11
	s_delay_alu instid0(VALU_DEP_1)
	v_mov_b32_e32 v49, v11
	v_cmpx_ngt_f32_e32 v11, v48
	s_cbranch_execz .LBB7_77
; %bb.74:
	s_mov_b32 s3, exec_lo
	v_cmpx_gt_f32_e32 v11, v46
; %bb.75:
	v_mov_b32_e32 v46, v11
; %bb.76:
	s_or_b32 exec_lo, exec_lo, s3
	s_delay_alu instid0(VALU_DEP_1)
	v_mov_b32_e32 v47, v46
	v_mov_b32_e32 v49, v48
.LBB7_77:
	s_or_b32 exec_lo, exec_lo, s2
	s_delay_alu instid0(VALU_DEP_1) | instskip(SKIP_1) | instid1(VALU_DEP_1)
	v_dual_mov_b32 v48, v49 :: v_dual_lshlrev_b32 v45, 16, v4
	s_mov_b32 s2, exec_lo
	v_add_f32_e32 v45, v23, v45
	s_delay_alu instid0(VALU_DEP_1)
	v_mov_b32_e32 v50, v45
	v_cmpx_ngt_f32_e32 v45, v49
	s_cbranch_execz .LBB7_81
; %bb.78:
	s_mov_b32 s3, exec_lo
	v_cmpx_gt_f32_e32 v45, v47
; %bb.79:
	v_mov_b32_e32 v47, v45
; %bb.80:
	s_or_b32 exec_lo, exec_lo, s3
	s_delay_alu instid0(VALU_DEP_1)
	v_mov_b32_e32 v48, v47
	v_mov_b32_e32 v50, v49
.LBB7_81:
	s_or_b32 exec_lo, exec_lo, s2
	v_and_b32_e32 v4, 0xffff0000, v4
	s_mov_b32 s2, exec_lo
	s_delay_alu instid0(VALU_DEP_1) | instskip(SKIP_1) | instid1(VALU_DEP_2)
	v_add_f32_e32 v46, v33, v4
	v_mov_b32_e32 v4, v50
	v_mov_b32_e32 v51, v46
	v_cmpx_ngt_f32_e32 v46, v50
	s_cbranch_execz .LBB7_85
; %bb.82:
	s_mov_b32 s3, exec_lo
	v_cmpx_gt_f32_e32 v46, v48
; %bb.83:
	v_mov_b32_e32 v48, v46
; %bb.84:
	s_or_b32 exec_lo, exec_lo, s3
	s_delay_alu instid0(VALU_DEP_1)
	v_dual_mov_b32 v4, v48 :: v_dual_mov_b32 v51, v50
.LBB7_85:
	s_or_b32 exec_lo, exec_lo, s2
	v_lshlrev_b32_e32 v47, 16, v5
	s_delay_alu instid0(VALU_DEP_2) | instskip(SKIP_1) | instid1(VALU_DEP_2)
	v_mov_b32_e32 v49, v51
	s_mov_b32 s2, exec_lo
	v_add_f32_e32 v47, v16, v47
	s_delay_alu instid0(VALU_DEP_1)
	v_mov_b32_e32 v50, v47
	v_cmpx_ngt_f32_e32 v47, v51
	s_cbranch_execz .LBB7_89
; %bb.86:
	s_mov_b32 s3, exec_lo
	v_cmpx_gt_f32_e32 v47, v4
; %bb.87:
	v_mov_b32_e32 v4, v47
; %bb.88:
	s_or_b32 exec_lo, exec_lo, s3
	s_delay_alu instid0(VALU_DEP_1)
	v_dual_mov_b32 v49, v4 :: v_dual_mov_b32 v50, v51
.LBB7_89:
	s_or_b32 exec_lo, exec_lo, s2
	v_and_b32_e32 v4, 0xffff0000, v5
	s_mov_b32 s2, exec_lo
	s_delay_alu instid0(VALU_DEP_1) | instskip(NEXT) | instid1(VALU_DEP_1)
	v_add_f32_e32 v48, v35, v4
	v_dual_mov_b32 v4, v50 :: v_dual_mov_b32 v51, v48
	v_cmpx_ngt_f32_e32 v48, v50
	s_cbranch_execz .LBB7_93
; %bb.90:
	s_mov_b32 s3, exec_lo
	v_cmpx_gt_f32_e32 v48, v49
; %bb.91:
	v_mov_b32_e32 v49, v48
; %bb.92:
	s_or_b32 exec_lo, exec_lo, s3
	s_delay_alu instid0(VALU_DEP_1)
	v_dual_mov_b32 v4, v49 :: v_dual_mov_b32 v51, v50
.LBB7_93:
	s_or_b32 exec_lo, exec_lo, s2
	v_lshlrev_b32_e32 v5, 16, v6
	s_mov_b32 s2, exec_lo
	s_delay_alu instid0(VALU_DEP_1) | instskip(NEXT) | instid1(VALU_DEP_1)
	v_add_f32_e32 v49, v17, v5
	v_dual_mov_b32 v5, v51 :: v_dual_mov_b32 v50, v49
	v_cmpx_ngt_f32_e32 v49, v51
	s_cbranch_execz .LBB7_97
; %bb.94:
	s_mov_b32 s3, exec_lo
	v_cmpx_gt_f32_e32 v49, v4
; %bb.95:
	v_mov_b32_e32 v4, v49
; %bb.96:
	s_or_b32 exec_lo, exec_lo, s3
	s_delay_alu instid0(VALU_DEP_1)
	v_dual_mov_b32 v5, v4 :: v_dual_mov_b32 v50, v51
.LBB7_97:
	s_or_b32 exec_lo, exec_lo, s2
	v_and_b32_e32 v4, 0xffff0000, v6
	s_mov_b32 s2, exec_lo
	s_delay_alu instid0(VALU_DEP_1) | instskip(SKIP_1) | instid1(VALU_DEP_2)
	v_add_f32_e32 v6, v36, v4
	v_mov_b32_e32 v4, v50
	v_mov_b32_e32 v51, v6
	v_cmpx_ngt_f32_e32 v6, v50
	s_cbranch_execz .LBB7_101
; %bb.98:
	s_mov_b32 s3, exec_lo
	v_cmpx_gt_f32_e32 v6, v5
; %bb.99:
	v_mov_b32_e32 v5, v6
; %bb.100:
	s_or_b32 exec_lo, exec_lo, s3
	s_delay_alu instid0(VALU_DEP_1)
	v_dual_mov_b32 v4, v5 :: v_dual_mov_b32 v51, v50
.LBB7_101:
	s_or_b32 exec_lo, exec_lo, s2
	v_lshlrev_b32_e32 v5, 16, v7
	s_mov_b32 s2, exec_lo
	s_delay_alu instid0(VALU_DEP_1) | instskip(NEXT) | instid1(VALU_DEP_1)
	v_dual_add_f32 v50, v18, v5 :: v_dual_mov_b32 v5, v51
	v_mov_b32_e32 v52, v50
	v_cmpx_ngt_f32_e32 v50, v51
	s_cbranch_execz .LBB7_105
; %bb.102:
	s_mov_b32 s3, exec_lo
	v_cmpx_gt_f32_e32 v50, v4
; %bb.103:
	v_mov_b32_e32 v4, v50
; %bb.104:
	s_or_b32 exec_lo, exec_lo, s3
	s_delay_alu instid0(VALU_DEP_1)
	v_dual_mov_b32 v5, v4 :: v_dual_mov_b32 v52, v51
.LBB7_105:
	s_or_b32 exec_lo, exec_lo, s2
	v_and_b32_e32 v4, 0xffff0000, v7
	s_mov_b32 s2, exec_lo
	s_delay_alu instid0(VALU_DEP_1) | instskip(NEXT) | instid1(VALU_DEP_1)
	v_dual_add_f32 v7, v37, v4 :: v_dual_mov_b32 v4, v52
	v_mov_b32_e32 v53, v7
	v_cmpx_ngt_f32_e32 v7, v52
	s_cbranch_execz .LBB7_109
; %bb.106:
	s_mov_b32 s3, exec_lo
	v_cmpx_gt_f32_e32 v7, v5
; %bb.107:
	v_mov_b32_e32 v5, v7
; %bb.108:
	s_or_b32 exec_lo, exec_lo, s3
	s_delay_alu instid0(VALU_DEP_1)
	v_dual_mov_b32 v4, v5 :: v_dual_mov_b32 v53, v52
.LBB7_109:
	s_or_b32 exec_lo, exec_lo, s2
	v_lshlrev_b32_e32 v5, 16, v0
	s_mov_b32 s2, exec_lo
	s_delay_alu instid0(VALU_DEP_1) | instskip(NEXT) | instid1(VALU_DEP_1)
	v_add_f32_e32 v51, v19, v5
	v_dual_mov_b32 v5, v53 :: v_dual_mov_b32 v54, v51
	v_cmpx_ngt_f32_e32 v51, v53
	s_cbranch_execz .LBB7_113
; %bb.110:
	s_mov_b32 s3, exec_lo
	v_cmpx_gt_f32_e32 v51, v4
; %bb.111:
	v_mov_b32_e32 v4, v51
; %bb.112:
	s_or_b32 exec_lo, exec_lo, s3
	s_delay_alu instid0(VALU_DEP_1)
	v_dual_mov_b32 v5, v4 :: v_dual_mov_b32 v54, v53
.LBB7_113:
	s_or_b32 exec_lo, exec_lo, s2
	v_and_b32_e32 v0, 0xffff0000, v0
	s_mov_b32 s2, exec_lo
	s_delay_alu instid0(VALU_DEP_1) | instskip(NEXT) | instid1(VALU_DEP_1)
	v_add_f32_e32 v52, v38, v0
	v_dual_mov_b32 v0, v54 :: v_dual_mov_b32 v55, v52
	v_cmpx_ngt_f32_e32 v52, v54
	s_cbranch_execz .LBB7_117
; %bb.114:
	s_mov_b32 s3, exec_lo
	v_cmpx_gt_f32_e32 v52, v5
; %bb.115:
	v_mov_b32_e32 v5, v52
; %bb.116:
	s_or_b32 exec_lo, exec_lo, s3
	s_delay_alu instid0(VALU_DEP_1)
	v_dual_mov_b32 v0, v5 :: v_dual_mov_b32 v55, v54
.LBB7_117:
	s_or_b32 exec_lo, exec_lo, s2
	v_lshlrev_b32_e32 v4, 16, v1
	s_mov_b32 s2, exec_lo
	s_delay_alu instid0(VALU_DEP_1) | instskip(NEXT) | instid1(VALU_DEP_1)
	v_dual_add_f32 v53, v12, v4 :: v_dual_mov_b32 v4, v55
	v_mov_b32_e32 v5, v53
	v_cmpx_ngt_f32_e32 v53, v55
	s_cbranch_execz .LBB7_121
; %bb.118:
	s_mov_b32 s3, exec_lo
	v_cmpx_gt_f32_e32 v53, v0
; %bb.119:
	v_mov_b32_e32 v0, v53
; %bb.120:
	s_or_b32 exec_lo, exec_lo, s3
	s_delay_alu instid0(VALU_DEP_1)
	v_dual_mov_b32 v4, v0 :: v_dual_mov_b32 v5, v55
.LBB7_121:
	s_or_b32 exec_lo, exec_lo, s2
	v_and_b32_e32 v0, 0xffff0000, v1
	s_mov_b32 s2, exec_lo
	s_delay_alu instid0(VALU_DEP_1) | instskip(SKIP_1) | instid1(VALU_DEP_2)
	v_add_f32_e32 v54, v39, v0
	v_mov_b32_e32 v0, v5
	v_mov_b32_e32 v56, v54
	v_cmpx_ngt_f32_e32 v54, v5
	s_cbranch_execz .LBB7_125
; %bb.122:
	s_mov_b32 s3, exec_lo
	v_cmpx_gt_f32_e32 v54, v4
; %bb.123:
	v_mov_b32_e32 v4, v54
; %bb.124:
	s_or_b32 exec_lo, exec_lo, s3
	s_delay_alu instid0(VALU_DEP_1)
	v_mov_b32_e32 v0, v4
	v_mov_b32_e32 v56, v5
.LBB7_125:
	s_or_b32 exec_lo, exec_lo, s2
	v_lshlrev_b32_e32 v1, 16, v2
	s_mov_b32 s2, exec_lo
	s_delay_alu instid0(VALU_DEP_1) | instskip(NEXT) | instid1(VALU_DEP_1)
	v_add_f32_e32 v55, v13, v1
	v_dual_mov_b32 v1, v56 :: v_dual_mov_b32 v4, v55
	v_cmpx_ngt_f32_e32 v55, v56
	s_cbranch_execz .LBB7_129
; %bb.126:
	s_mov_b32 s3, exec_lo
	v_cmpx_gt_f32_e32 v55, v0
; %bb.127:
	v_mov_b32_e32 v0, v55
; %bb.128:
	s_or_b32 exec_lo, exec_lo, s3
	s_delay_alu instid0(VALU_DEP_1)
	v_mov_b32_e32 v1, v0
	v_mov_b32_e32 v4, v56
.LBB7_129:
	s_or_b32 exec_lo, exec_lo, s2
	v_and_b32_e32 v0, 0xffff0000, v2
	s_mov_b32 s2, exec_lo
	s_delay_alu instid0(VALU_DEP_1) | instskip(SKIP_1) | instid1(VALU_DEP_2)
	v_add_f32_e32 v56, v40, v0
	v_mov_b32_e32 v0, v4
	v_mov_b32_e32 v2, v56
	v_cmpx_ngt_f32_e32 v56, v4
	s_cbranch_execz .LBB7_133
; %bb.130:
	s_mov_b32 s3, exec_lo
	v_cmpx_gt_f32_e32 v56, v1
; %bb.131:
	v_mov_b32_e32 v1, v56
; %bb.132:
	s_or_b32 exec_lo, exec_lo, s3
	s_delay_alu instid0(VALU_DEP_1)
	v_mov_b32_e32 v0, v1
	v_mov_b32_e32 v2, v4
.LBB7_133:
	s_or_b32 exec_lo, exec_lo, s2
	v_lshlrev_b32_e32 v1, 16, v3
	s_mov_b32 s2, exec_lo
	s_delay_alu instid0(VALU_DEP_1) | instskip(NEXT) | instid1(VALU_DEP_1)
	v_add_f32_e32 v57, v14, v1
	v_dual_mov_b32 v1, v2 :: v_dual_mov_b32 v4, v57
	v_cmpx_ngt_f32_e32 v57, v2
	s_cbranch_execz .LBB7_137
; %bb.134:
	s_mov_b32 s3, exec_lo
	v_cmpx_gt_f32_e32 v57, v0
; %bb.135:
	v_mov_b32_e32 v0, v57
; %bb.136:
	s_or_b32 exec_lo, exec_lo, s3
	s_delay_alu instid0(VALU_DEP_1)
	v_dual_mov_b32 v1, v0 :: v_dual_mov_b32 v4, v2
.LBB7_137:
	s_or_b32 exec_lo, exec_lo, s2
	v_and_b32_e32 v0, 0xffff0000, v3
	s_mov_b32 s2, exec_lo
	s_delay_alu instid0(VALU_DEP_1) | instskip(SKIP_1) | instid1(VALU_DEP_2)
	v_add_f32_e32 v58, v15, v0
	v_mov_b32_e32 v0, v4
	v_mov_b32_e32 v2, v58
	v_cmpx_ngt_f32_e32 v58, v4
	s_cbranch_execz .LBB7_141
; %bb.138:
	s_mov_b32 s3, exec_lo
	v_cmpx_gt_f32_e32 v58, v1
; %bb.139:
	v_mov_b32_e32 v1, v58
; %bb.140:
	s_or_b32 exec_lo, exec_lo, s3
	s_delay_alu instid0(VALU_DEP_1)
	v_mov_b32_e32 v0, v1
	v_mov_b32_e32 v2, v4
.LBB7_141:
	s_or_b32 exec_lo, exec_lo, s2
	v_cmp_lt_i64_e64 s2, s[46:47], 8
	s_delay_alu instid0(VALU_DEP_1)
	s_and_b32 vcc_lo, exec_lo, s2
	s_cbranch_vccz .LBB7_144
; %bb.142:
	v_add_f32_e32 v0, v0, v2
	s_sub_u32 s4, 8, s46
	s_subb_u32 s5, 0, s47
	s_mov_b64 s[6:7], 0
.LBB7_143:                              ; =>This Inner Loop Header: Depth=1
	s_delay_alu instid0(VALU_DEP_1) | instskip(SKIP_1) | instid1(VALU_DEP_2)
	v_mov_b32_dpp v1, v0 quad_perm:[1,0,3,2] row_mask:0xf bank_mask:0xf
	v_mov_b32_dpp v2, v27 quad_perm:[1,0,3,2] row_mask:0xf bank_mask:0xf
	v_cmp_eq_f32_e32 vcc_lo, v0, v1
	s_delay_alu instid0(VALU_DEP_2) | instskip(SKIP_1) | instid1(VALU_DEP_2)
	v_cmp_lt_i32_e64 s2, v27, v2
	v_cmp_lt_f32_e64 s3, v0, v1
	s_and_b32 s2, s2, vcc_lo
	s_delay_alu instid0(VALU_DEP_1) | instid1(SALU_CYCLE_1)
	s_or_b32 vcc_lo, s3, s2
	v_dual_cndmask_b32 v1, v1, v0 :: v_dual_cndmask_b32 v2, v2, v27
	s_delay_alu instid0(VALU_DEP_1) | instskip(NEXT) | instid1(VALU_DEP_2)
	v_mov_b32_dpp v3, v1 quad_perm:[2,3,0,1] row_mask:0xf bank_mask:0xf
	v_mov_b32_dpp v4, v2 quad_perm:[2,3,0,1] row_mask:0xf bank_mask:0xf
	s_delay_alu instid0(VALU_DEP_2) | instskip(NEXT) | instid1(VALU_DEP_2)
	v_cmp_eq_f32_e32 vcc_lo, v1, v3
	v_cmp_lt_i32_e64 s2, v2, v4
	s_delay_alu instid0(VALU_DEP_1) | instskip(SKIP_2) | instid1(VALU_DEP_2)
	s_and_b32 vcc_lo, vcc_lo, s2
	v_cmp_lt_f32_e64 s2, v1, v3
	v_cndmask_b32_e32 v5, v3, v1, vcc_lo
	s_or_b32 vcc_lo, s2, vcc_lo
	s_add_u32 s6, s6, 1
	v_cndmask_b32_e32 v2, v4, v2, vcc_lo
	s_delay_alu instid0(VALU_DEP_2) | instskip(SKIP_1) | instid1(SALU_CYCLE_1)
	v_cndmask_b32_e64 v1, v5, v1, s2
	s_addc_u32 s7, s7, 0
	v_cmp_le_i64_e64 s2, s[4:5], s[6:7]
	s_delay_alu instid0(VALU_DEP_3) | instskip(NEXT) | instid1(VALU_DEP_3)
	v_mov_b32_dpp v3, v2 row_half_mirror row_mask:0xf bank_mask:0xf
	v_mov_b32_dpp v4, v1 row_half_mirror row_mask:0xf bank_mask:0xf
	s_delay_alu instid0(VALU_DEP_2) | instskip(NEXT) | instid1(VALU_DEP_2)
	v_min_i32_e32 v5, v2, v3
	v_cmp_eq_f32_e32 vcc_lo, v1, v4
	s_delay_alu instid0(VALU_DEP_2) | instskip(SKIP_1) | instid1(VALU_DEP_2)
	v_cndmask_b32_e32 v3, v3, v5, vcc_lo
	v_cmp_lt_f32_e32 vcc_lo, v1, v4
	v_cndmask_b32_e32 v1, v3, v2, vcc_lo
	s_delay_alu instid0(VALU_DEP_1) | instskip(NEXT) | instid1(VALU_DEP_1)
	v_mul_hi_i32 v1, 0x2aaaaaab, v1
	v_lshrrev_b32_e32 v2, 31, v1
	v_ashrrev_i32_e32 v1, 2, v1
	s_delay_alu instid0(VALU_DEP_1) | instskip(NEXT) | instid1(VALU_DEP_1)
	v_add_nc_u32_e32 v1, v1, v2
	v_cmp_eq_u32_e32 vcc_lo, v26, v1
	v_cndmask_b32_e64 v8, v8, 0x7f7fffff, vcc_lo
	v_cndmask_b32_e64 v0, v0, 0x7f7fffff, vcc_lo
	s_and_b32 vcc_lo, exec_lo, s2
	s_cbranch_vccz .LBB7_143
.LBB7_144:
	s_sub_u32 s26, s48, s50
	s_subb_u32 s27, s49, s51
	s_mov_b64 s[2:3], src_shared_base
	s_cmp_lg_u32 0, -1
	v_lshlrev_b32_e32 v4, 2, v34
	s_cselect_b32 s2, s3, 0
	s_cselect_b32 s3, 0, 0
	s_load_b32 s30, s[0:1], 0x48
	s_add_u32 s4, s3, 0xff
	s_addc_u32 s3, s2, 0
	s_and_b32 s2, s4, 0xffffff00
	s_delay_alu instid0(SALU_CYCLE_1) | instskip(SKIP_1) | instid1(VALU_DEP_1)
	v_mad_u64_u32 v[0:1], null, v4, s48, s[2:3]
	v_cmp_lt_i64_e64 s2, s[26:27], 1
	s_and_b32 vcc_lo, exec_lo, s2
	s_delay_alu instid0(VALU_DEP_2) | instskip(SKIP_1) | instid1(VALU_DEP_2)
	v_mad_u64_u32 v[2:3], null, v4, s49, v[1:2]
	v_cmp_eq_u32_e64 s2, 0, v26
	v_mov_b32_e32 v1, v2
	s_cbranch_vccnz .LBB7_155
; %bb.145:
	s_waitcnt lgkmcnt(0)
	v_mad_u64_u32 v[2:3], null, s30, v24, 0
	s_ashr_i32 s3, s30, 31
	v_add_nc_u32_e32 v62, 11, v27
	v_dual_mov_b32 v34, 0 :: v_dual_add_nc_u32 v59, 8, v27
	v_add_nc_u32_e32 v61, 10, v27
	v_add_nc_u32_e32 v63, 12, v27
	v_mad_u64_u32 v[4:5], null, s3, v24, v[3:4]
	v_add_nc_u32_e32 v60, 9, v27
	v_add_nc_u32_e32 v64, 13, v27
	v_add_nc_u32_e32 v65, 14, v27
	v_add_nc_u32_e32 v66, 15, v27
	v_add_nc_u32_e32 v67, 16, v27
	v_dual_mov_b32 v3, v4 :: v_dual_add_nc_u32 v68, 17, v27
	v_mov_b32_e32 v5, v1
	v_add_nc_u32_e32 v69, 18, v27
	v_add_nc_u32_e32 v70, 19, v27
	;; [unrolled: 1-line block ×3, first 2 shown]
	v_lshlrev_b64 v[2:3], 2, v[2:3]
	v_add_nc_u32_e32 v72, 21, v27
	v_add_nc_u32_e32 v73, 22, v27
	v_add_nc_u32_e32 v74, 23, v27
	v_mov_b32_e32 v4, v0
	s_mov_b64 s[28:29], 0
	v_add_co_u32 v2, vcc_lo, s42, v2
	v_add_co_ci_u32_e32 v3, vcc_lo, s43, v3, vcc_lo
	s_branch .LBB7_147
.LBB7_146:                              ;   in Loop: Header=BB7_147 Depth=1
	s_or_b32 exec_lo, exec_lo, s3
	s_add_u32 s28, s28, 1
	s_addc_u32 s29, s29, 0
	v_add_co_u32 v2, vcc_lo, v2, 4
	v_cmp_le_i64_e64 s3, s[26:27], s[28:29]
	v_add_co_ci_u32_e32 v3, vcc_lo, 0, v3, vcc_lo
	v_add_co_u32 v4, vcc_lo, v4, 4
	v_add_co_ci_u32_e32 v5, vcc_lo, 0, v5, vcc_lo
	s_delay_alu instid0(VALU_DEP_4)
	s_and_b32 vcc_lo, exec_lo, s3
	s_cbranch_vccnz .LBB7_156
.LBB7_147:                              ; =>This Inner Loop Header: Depth=1
	v_dual_mov_b32 v75, 0xff7fffff :: v_dual_mov_b32 v76, v27
	s_mov_b32 s3, exec_lo
	v_cmpx_neq_f32_e32 0x7f7fffff, v8
	s_cbranch_execz .LBB7_149
; %bb.148:                              ;   in Loop: Header=BB7_147 Depth=1
	v_cmp_gt_f32_e32 vcc_lo, v41, v8
	v_cndmask_b32_e32 v75, v8, v41, vcc_lo
	v_cndmask_b32_e64 v76, 0, 1, vcc_lo
	s_delay_alu instid0(VALU_DEP_2) | instskip(SKIP_1) | instid1(VALU_DEP_3)
	v_cmp_gt_f32_e32 vcc_lo, v42, v75
	v_cndmask_b32_e32 v75, v75, v42, vcc_lo
	v_cndmask_b32_e64 v76, v76, 2, vcc_lo
	s_delay_alu instid0(VALU_DEP_2) | instskip(SKIP_1) | instid1(VALU_DEP_3)
	;; [unrolled: 4-line block ×6, first 2 shown]
	v_cmp_gt_f32_e32 vcc_lo, v11, v75
	v_cndmask_b32_e32 v75, v75, v11, vcc_lo
	v_cndmask_b32_e64 v76, v76, 7, vcc_lo
	s_delay_alu instid0(VALU_DEP_2) | instskip(NEXT) | instid1(VALU_DEP_2)
	v_cmp_gt_f32_e32 vcc_lo, v45, v75
	v_or_b32_e32 v76, v76, v27
	s_delay_alu instid0(VALU_DEP_1) | instskip(NEXT) | instid1(VALU_DEP_1)
	v_dual_cndmask_b32 v75, v75, v45 :: v_dual_cndmask_b32 v76, v76, v59
	v_cmp_gt_f32_e32 vcc_lo, v46, v75
	s_delay_alu instid0(VALU_DEP_2) | instskip(NEXT) | instid1(VALU_DEP_1)
	v_dual_cndmask_b32 v75, v75, v46 :: v_dual_cndmask_b32 v76, v76, v60
	v_cmp_gt_f32_e32 vcc_lo, v47, v75
	s_delay_alu instid0(VALU_DEP_2) | instskip(NEXT) | instid1(VALU_DEP_1)
	;; [unrolled: 3-line block ×7, first 2 shown]
	v_dual_cndmask_b32 v75, v75, v7 :: v_dual_cndmask_b32 v76, v76, v66
	v_cmp_gt_f32_e32 vcc_lo, v51, v75
	v_cndmask_b32_e32 v75, v75, v51, vcc_lo
	s_delay_alu instid0(VALU_DEP_3) | instskip(NEXT) | instid1(VALU_DEP_2)
	v_cndmask_b32_e32 v76, v76, v67, vcc_lo
	v_cmp_gt_f32_e32 vcc_lo, v52, v75
	v_cndmask_b32_e32 v75, v75, v52, vcc_lo
	s_delay_alu instid0(VALU_DEP_3) | instskip(NEXT) | instid1(VALU_DEP_2)
	v_cndmask_b32_e32 v76, v76, v68, vcc_lo
	;; [unrolled: 4-line block ×7, first 2 shown]
	v_cmp_gt_f32_e32 vcc_lo, v58, v75
	s_delay_alu instid0(VALU_DEP_2)
	v_cndmask_b32_e32 v76, v76, v74, vcc_lo
	v_cndmask_b32_e32 v75, v75, v58, vcc_lo
.LBB7_149:                              ;   in Loop: Header=BB7_147 Depth=1
	s_or_b32 exec_lo, exec_lo, s3
	s_delay_alu instid0(VALU_DEP_1) | instskip(NEXT) | instid1(VALU_DEP_3)
	v_mov_b32_dpp v77, v75 quad_perm:[1,0,3,2] row_mask:0xf bank_mask:0xf
	v_mov_b32_dpp v78, v76 quad_perm:[1,0,3,2] row_mask:0xf bank_mask:0xf
	s_mov_b32 s31, exec_lo
	s_delay_alu instid0(VALU_DEP_2) | instskip(NEXT) | instid1(VALU_DEP_2)
	v_cmp_eq_f32_e32 vcc_lo, v75, v77
	v_cmp_lt_i32_e64 s3, v76, v78
	v_cmp_gt_f32_e64 s4, v75, v77
	s_delay_alu instid0(VALU_DEP_2)
	s_and_b32 s3, vcc_lo, s3
	s_delay_alu instid0(VALU_DEP_1) | instid1(SALU_CYCLE_1)
	s_or_b32 vcc_lo, s4, s3
	v_dual_cndmask_b32 v75, v77, v75 :: v_dual_cndmask_b32 v76, v78, v76
	s_delay_alu instid0(VALU_DEP_1) | instskip(NEXT) | instid1(VALU_DEP_2)
	v_mov_b32_dpp v77, v75 quad_perm:[2,3,0,1] row_mask:0xf bank_mask:0xf
	v_mov_b32_dpp v78, v76 quad_perm:[2,3,0,1] row_mask:0xf bank_mask:0xf
	s_delay_alu instid0(VALU_DEP_2) | instskip(NEXT) | instid1(VALU_DEP_2)
	v_cmp_eq_f32_e32 vcc_lo, v75, v77
	v_cmp_lt_i32_e64 s3, v76, v78
	s_delay_alu instid0(VALU_DEP_1) | instskip(SKIP_2) | instid1(VALU_DEP_2)
	s_and_b32 vcc_lo, vcc_lo, s3
	v_cmp_gt_f32_e64 s3, v75, v77
	v_cndmask_b32_e32 v79, v77, v75, vcc_lo
	s_or_b32 vcc_lo, s3, vcc_lo
	v_cndmask_b32_e32 v76, v78, v76, vcc_lo
	s_delay_alu instid0(VALU_DEP_2) | instskip(NEXT) | instid1(VALU_DEP_2)
	v_cndmask_b32_e64 v75, v79, v75, s3
	v_mov_b32_dpp v77, v76 row_half_mirror row_mask:0xf bank_mask:0xf
	s_delay_alu instid0(VALU_DEP_2) | instskip(NEXT) | instid1(VALU_DEP_2)
	v_mov_b32_dpp v78, v75 row_half_mirror row_mask:0xf bank_mask:0xf
	v_min_i32_e32 v79, v76, v77
	s_delay_alu instid0(VALU_DEP_2) | instskip(NEXT) | instid1(VALU_DEP_2)
	v_cmp_eq_f32_e32 vcc_lo, v75, v78
	v_cndmask_b32_e32 v77, v77, v79, vcc_lo
	v_cmp_gt_f32_e32 vcc_lo, v75, v78
	s_delay_alu instid0(VALU_DEP_2) | instskip(NEXT) | instid1(VALU_DEP_1)
	v_cndmask_b32_e32 v75, v77, v76, vcc_lo
	v_mul_hi_i32 v76, 0x2aaaaaab, v75
	s_delay_alu instid0(VALU_DEP_1) | instskip(SKIP_1) | instid1(VALU_DEP_1)
	v_lshrrev_b32_e32 v77, 31, v76
	v_ashrrev_i32_e32 v76, 2, v76
	v_add_nc_u32_e32 v76, v76, v77
	s_delay_alu instid0(VALU_DEP_1)
	v_cmpx_eq_u32_e64 v26, v76
	s_cbranch_execz .LBB7_153
; %bb.150:                              ;   in Loop: Header=BB7_147 Depth=1
	v_sub_nc_u32_e32 v76, v75, v27
	s_mov_b32 s33, exec_lo
	s_delay_alu instid0(VALU_DEP_1)
	v_cmp_eq_u32_e32 vcc_lo, 1, v76
	v_cmp_eq_u32_e64 s3, 2, v76
	v_cmp_eq_u32_e64 s4, 3, v76
	;; [unrolled: 1-line block ×22, first 2 shown]
	v_cmpx_gt_u32_e32 24, v76
	s_cbranch_execz .LBB7_152
; %bb.151:                              ;   in Loop: Header=BB7_147 Depth=1
	v_cndmask_b32_e32 v77, v28, v29, vcc_lo
	s_delay_alu instid0(VALU_DEP_1) | instskip(NEXT) | instid1(VALU_DEP_1)
	v_cndmask_b32_e64 v77, v77, v20, s3
	v_cndmask_b32_e64 v77, v77, v30, s4
	s_delay_alu instid0(VALU_DEP_1) | instskip(NEXT) | instid1(VALU_DEP_1)
	v_cndmask_b32_e64 v77, v77, v21, s5
	v_cndmask_b32_e64 v77, v77, v31, s6
	;; [unrolled: 3-line block ×11, first 2 shown]
	flat_store_b32 v[4:5], v77
.LBB7_152:                              ;   in Loop: Header=BB7_147 Depth=1
	s_or_b32 exec_lo, exec_lo, s33
	v_cmp_ne_u32_e64 s25, 0, v76
	v_cndmask_b32_e64 v41, v41, 0xff7fffff, vcc_lo
	v_cndmask_b32_e64 v42, v42, 0xff7fffff, s3
	v_cndmask_b32_e64 v9, v9, 0xff7fffff, s4
	;; [unrolled: 1-line block ×23, first 2 shown]
	global_store_b32 v[2:3], v75, off
.LBB7_153:                              ;   in Loop: Header=BB7_147 Depth=1
	s_or_b32 exec_lo, exec_lo, s31
	s_waitcnt lgkmcnt(0)
	s_waitcnt_vscnt null, 0x0
	s_barrier
	buffer_gl0_inv
	s_and_saveexec_b32 s3, s2
	s_cbranch_execz .LBB7_146
; %bb.154:                              ;   in Loop: Header=BB7_147 Depth=1
	flat_load_b32 v75, v[4:5]
	s_waitcnt vmcnt(0) lgkmcnt(0)
	v_add_f32_e32 v34, v34, v75
	s_branch .LBB7_146
.LBB7_155:
	v_mov_b32_e32 v34, 0
.LBB7_156:
	v_cmp_gt_i64_e64 s3, s[50:51], 0
	v_cmp_eq_u32_e64 s2, 0, v26
	s_delay_alu instid0(VALU_DEP_1) | instskip(NEXT) | instid1(SALU_CYCLE_1)
	s_and_b32 s4, s2, s3
	s_and_saveexec_b32 s3, s4
	s_cbranch_execz .LBB7_162
; %bb.157:
	v_dual_mov_b32 v2, v24 :: v_dual_mov_b32 v3, v25
	s_mov_b32 s4, exec_lo
	v_cmpx_le_u64_e64 s[50:51], v[24:25]
	s_cbranch_execz .LBB7_159
; %bb.158:
	v_cvt_f32_u32_e32 v2, s50
	s_sub_i32 s5, 0, s50
	s_delay_alu instid0(VALU_DEP_1) | instskip(SKIP_2) | instid1(VALU_DEP_1)
	v_rcp_iflag_f32_e32 v2, v2
	s_waitcnt_depctr 0xfff
	v_mul_f32_e32 v2, 0x4f7ffffe, v2
	v_cvt_u32_f32_e32 v2, v2
	s_delay_alu instid0(VALU_DEP_1) | instskip(NEXT) | instid1(VALU_DEP_1)
	v_mul_lo_u32 v3, s5, v2
	v_mul_hi_u32 v3, v2, v3
	s_delay_alu instid0(VALU_DEP_1) | instskip(NEXT) | instid1(VALU_DEP_1)
	v_add_nc_u32_e32 v2, v2, v3
	v_mul_hi_u32 v2, v24, v2
	s_delay_alu instid0(VALU_DEP_1) | instskip(NEXT) | instid1(VALU_DEP_1)
	v_mul_lo_u32 v2, v2, s50
	v_sub_nc_u32_e32 v2, v24, v2
	s_delay_alu instid0(VALU_DEP_1) | instskip(SKIP_1) | instid1(VALU_DEP_2)
	v_subrev_nc_u32_e32 v3, s50, v2
	v_cmp_le_u32_e32 vcc_lo, s50, v2
	v_cndmask_b32_e32 v2, v2, v3, vcc_lo
	s_delay_alu instid0(VALU_DEP_1) | instskip(SKIP_1) | instid1(VALU_DEP_2)
	v_subrev_nc_u32_e32 v3, s50, v2
	v_cmp_le_u32_e32 vcc_lo, s50, v2
	v_dual_cndmask_b32 v2, v2, v3 :: v_dual_mov_b32 v3, 0
.LBB7_159:
	s_or_b32 exec_lo, exec_lo, s4
	v_cvt_f64_f32_e32 v[4:5], v34
	s_load_b64 s[0:1], s[0:1], 0x40
	s_waitcnt lgkmcnt(0)
	s_delay_alu instid0(VALU_DEP_1) | instskip(SKIP_1) | instid1(VALU_DEP_2)
	v_div_scale_f64 v[6:7], null, s[0:1], s[0:1], v[4:5]
	v_div_scale_f64 v[12:13], vcc_lo, v[4:5], s[0:1], v[4:5]
	v_rcp_f64_e32 v[8:9], v[6:7]
	s_waitcnt_depctr 0xfff
	v_fma_f64 v[10:11], -v[6:7], v[8:9], 1.0
	s_delay_alu instid0(VALU_DEP_1) | instskip(NEXT) | instid1(VALU_DEP_1)
	v_fma_f64 v[8:9], v[8:9], v[10:11], v[8:9]
	v_fma_f64 v[10:11], -v[6:7], v[8:9], 1.0
	s_delay_alu instid0(VALU_DEP_1) | instskip(NEXT) | instid1(VALU_DEP_1)
	v_fma_f64 v[8:9], v[8:9], v[10:11], v[8:9]
	v_mul_f64 v[10:11], v[12:13], v[8:9]
	s_delay_alu instid0(VALU_DEP_1) | instskip(NEXT) | instid1(VALU_DEP_1)
	v_fma_f64 v[6:7], -v[6:7], v[10:11], v[12:13]
	v_div_fmas_f64 v[6:7], v[6:7], v[8:9], v[10:11]
	v_add_nc_u32_e32 v11, 0xc0, v2
	s_delay_alu instid0(VALU_DEP_2) | instskip(SKIP_2) | instid1(VALU_DEP_2)
	v_div_fixup_f64 v[4:5], v[6:7], s[0:1], v[4:5]
	v_mad_u64_u32 v[6:7], null, s30, v24, s[26:27]
	s_ashr_i32 s0, s30, 31
	v_cvt_f32_f64_e32 v8, v[4:5]
	s_delay_alu instid0(VALU_DEP_2) | instskip(NEXT) | instid1(VALU_DEP_1)
	v_mov_b32_e32 v4, v7
	v_mad_u64_u32 v[9:10], null, s0, v24, v[4:5]
	v_cmp_lt_u64_e64 s0, s[50:51], 2
	s_delay_alu instid0(VALU_DEP_2) | instskip(NEXT) | instid1(VALU_DEP_1)
	v_mov_b32_e32 v7, v9
	v_lshlrev_b64 v[4:5], 2, v[6:7]
	s_delay_alu instid0(VALU_DEP_1) | instskip(NEXT) | instid1(VALU_DEP_2)
	v_add_co_u32 v6, vcc_lo, s42, v4
	v_add_co_ci_u32_e32 v7, vcc_lo, s43, v5, vcc_lo
	v_add_co_u32 v9, vcc_lo, s40, v4
	v_add_co_ci_u32_e32 v10, vcc_lo, s41, v5, vcc_lo
	s_and_b32 vcc_lo, exec_lo, s0
	global_store_b32 v[6:7], v11, off
	global_store_b32 v[9:10], v8, off
	s_cbranch_vccnz .LBB7_162
; %bb.160:
	v_add_co_u32 v6, vcc_lo, v4, 4
	v_add_co_ci_u32_e32 v7, vcc_lo, 0, v5, vcc_lo
	s_mov_b64 s[0:1], 1
	s_delay_alu instid0(VALU_DEP_2) | instskip(NEXT) | instid1(VALU_DEP_2)
	v_add_co_u32 v4, vcc_lo, s40, v6
	v_add_co_ci_u32_e32 v5, vcc_lo, s41, v7, vcc_lo
	v_add_co_u32 v6, vcc_lo, s42, v6
	v_add_co_ci_u32_e32 v7, vcc_lo, s43, v7, vcc_lo
	.p2align	6
.LBB7_161:                              ; =>This Inner Loop Header: Depth=1
	s_delay_alu instid0(VALU_DEP_2)
	v_add_co_u32 v9, vcc_lo, v2, 1
	v_add_co_ci_u32_e32 v10, vcc_lo, 0, v3, vcc_lo
	v_add_nc_u32_e32 v2, 0xc1, v2
	s_add_u32 s0, s0, 1
	global_store_b32 v[4:5], v8, off
	v_add_co_u32 v4, vcc_lo, v4, 4
	s_addc_u32 s1, s1, 0
	v_add_co_ci_u32_e32 v5, vcc_lo, 0, v5, vcc_lo
	v_cmp_lt_u64_e64 s4, s[0:1], s[50:51]
	global_store_b32 v[6:7], v2, off
	v_add_co_u32 v6, vcc_lo, v6, 4
	v_dual_mov_b32 v2, v9 :: v_dual_mov_b32 v3, v10
	v_add_co_ci_u32_e32 v7, vcc_lo, 0, v7, vcc_lo
	s_and_b32 vcc_lo, exec_lo, s4
	s_cbranch_vccnz .LBB7_161
.LBB7_162:
	s_or_b32 exec_lo, exec_lo, s3
	v_cmp_gt_i64_e64 s3, s[48:49], 0
	s_mov_b64 s[0:1], 0
	s_waitcnt lgkmcnt(0)
	s_waitcnt_vscnt null, 0x0
	s_barrier
	buffer_gl0_inv
	s_and_b32 s2, s2, s3
	s_delay_alu instid0(SALU_CYCLE_1)
	s_and_b32 exec_lo, exec_lo, s2
	s_cbranch_execz .LBB7_169
; %bb.163:
	v_mad_u64_u32 v[2:3], null, s30, v24, 0
	s_ashr_i32 s2, s30, 31
	s_delay_alu instid0(VALU_DEP_1) | instid1(SALU_CYCLE_1)
	v_mad_u64_u32 v[4:5], null, s2, v24, v[3:4]
	v_cmp_lt_u64_e64 s2, s[48:49], 8
	s_delay_alu instid0(VALU_DEP_2) | instskip(NEXT) | instid1(VALU_DEP_1)
	v_mov_b32_e32 v3, v4
	v_lshlrev_b64 v[2:3], 2, v[2:3]
	s_delay_alu instid0(VALU_DEP_1) | instskip(NEXT) | instid1(VALU_DEP_2)
	v_add_co_u32 v2, vcc_lo, s40, v2
	v_add_co_ci_u32_e32 v3, vcc_lo, s41, v3, vcc_lo
	s_and_b32 vcc_lo, exec_lo, s2
	s_cbranch_vccnz .LBB7_166
; %bb.164:
	s_and_b32 s1, s49, 0x7fffffff
	s_and_b32 s0, s48, -8
	s_mov_b64 s[2:3], 0
	s_mov_b64 s[4:5], s[0:1]
.LBB7_165:                              ; =>This Inner Loop Header: Depth=1
	v_add_co_u32 v4, vcc_lo, v0, s2
	v_add_co_ci_u32_e32 v5, vcc_lo, s3, v1, vcc_lo
	flat_load_b32 v8, v[4:5]
	s_waitcnt vmcnt(0) lgkmcnt(0)
	v_div_scale_f32 v6, null, v34, v34, v8
	v_div_scale_f32 v10, vcc_lo, v8, v34, v8
	s_delay_alu instid0(VALU_DEP_2) | instskip(SKIP_2) | instid1(VALU_DEP_1)
	v_rcp_f32_e32 v7, v6
	s_waitcnt_depctr 0xfff
	v_fma_f32 v9, -v6, v7, 1.0
	v_fmac_f32_e32 v7, v9, v7
	s_delay_alu instid0(VALU_DEP_1) | instskip(NEXT) | instid1(VALU_DEP_1)
	v_mul_f32_e32 v9, v10, v7
	v_fma_f32 v11, -v6, v9, v10
	s_delay_alu instid0(VALU_DEP_1) | instskip(NEXT) | instid1(VALU_DEP_1)
	v_fmac_f32_e32 v9, v11, v7
	v_fma_f32 v6, -v6, v9, v10
	s_delay_alu instid0(VALU_DEP_1) | instskip(SKIP_2) | instid1(VALU_DEP_3)
	v_div_fmas_f32 v9, v6, v7, v9
	v_add_co_u32 v6, vcc_lo, v2, s2
	v_add_co_ci_u32_e32 v7, vcc_lo, s3, v3, vcc_lo
	v_div_fixup_f32 v8, v9, v34, v8
	s_add_u32 s2, s2, 32
	s_addc_u32 s3, s3, 0
	s_add_u32 s4, s4, -8
	s_addc_u32 s5, s5, -1
	global_store_b32 v[6:7], v8, off
	flat_load_b32 v8, v[4:5] offset:4
	s_cmp_lg_u64 s[4:5], 0
	s_waitcnt vmcnt(0) lgkmcnt(0)
	v_div_scale_f32 v9, null, v34, v34, v8
	v_div_scale_f32 v12, vcc_lo, v8, v34, v8
	s_delay_alu instid0(VALU_DEP_2) | instskip(SKIP_2) | instid1(VALU_DEP_1)
	v_rcp_f32_e32 v10, v9
	s_waitcnt_depctr 0xfff
	v_fma_f32 v11, -v9, v10, 1.0
	v_fmac_f32_e32 v10, v11, v10
	s_delay_alu instid0(VALU_DEP_1) | instskip(NEXT) | instid1(VALU_DEP_1)
	v_mul_f32_e32 v11, v12, v10
	v_fma_f32 v13, -v9, v11, v12
	s_delay_alu instid0(VALU_DEP_1) | instskip(NEXT) | instid1(VALU_DEP_1)
	v_fmac_f32_e32 v11, v13, v10
	v_fma_f32 v9, -v9, v11, v12
	s_delay_alu instid0(VALU_DEP_1) | instskip(NEXT) | instid1(VALU_DEP_1)
	v_div_fmas_f32 v9, v9, v10, v11
	v_div_fixup_f32 v8, v9, v34, v8
	global_store_b32 v[6:7], v8, off offset:4
	flat_load_b32 v8, v[4:5] offset:8
	s_waitcnt vmcnt(0) lgkmcnt(0)
	v_div_scale_f32 v9, null, v34, v34, v8
	v_div_scale_f32 v12, vcc_lo, v8, v34, v8
	s_delay_alu instid0(VALU_DEP_2) | instskip(SKIP_2) | instid1(VALU_DEP_1)
	v_rcp_f32_e32 v10, v9
	s_waitcnt_depctr 0xfff
	v_fma_f32 v11, -v9, v10, 1.0
	v_fmac_f32_e32 v10, v11, v10
	s_delay_alu instid0(VALU_DEP_1) | instskip(NEXT) | instid1(VALU_DEP_1)
	v_mul_f32_e32 v11, v12, v10
	v_fma_f32 v13, -v9, v11, v12
	s_delay_alu instid0(VALU_DEP_1) | instskip(NEXT) | instid1(VALU_DEP_1)
	v_fmac_f32_e32 v11, v13, v10
	v_fma_f32 v9, -v9, v11, v12
	s_delay_alu instid0(VALU_DEP_1) | instskip(NEXT) | instid1(VALU_DEP_1)
	v_div_fmas_f32 v9, v9, v10, v11
	v_div_fixup_f32 v8, v9, v34, v8
	global_store_b32 v[6:7], v8, off offset:8
	flat_load_b32 v8, v[4:5] offset:12
	;; [unrolled: 19-line block ×6, first 2 shown]
	s_waitcnt vmcnt(0) lgkmcnt(0)
	v_div_scale_f32 v5, null, v34, v34, v4
	v_div_scale_f32 v10, vcc_lo, v4, v34, v4
	s_delay_alu instid0(VALU_DEP_2) | instskip(SKIP_2) | instid1(VALU_DEP_1)
	v_rcp_f32_e32 v8, v5
	s_waitcnt_depctr 0xfff
	v_fma_f32 v9, -v5, v8, 1.0
	v_fmac_f32_e32 v8, v9, v8
	s_delay_alu instid0(VALU_DEP_1) | instskip(NEXT) | instid1(VALU_DEP_1)
	v_mul_f32_e32 v9, v10, v8
	v_fma_f32 v11, -v5, v9, v10
	s_delay_alu instid0(VALU_DEP_1) | instskip(NEXT) | instid1(VALU_DEP_1)
	v_fmac_f32_e32 v9, v11, v8
	v_fma_f32 v5, -v5, v9, v10
	s_delay_alu instid0(VALU_DEP_1) | instskip(NEXT) | instid1(VALU_DEP_1)
	v_div_fmas_f32 v5, v5, v8, v9
	v_div_fixup_f32 v4, v5, v34, v4
	global_store_b32 v[6:7], v4, off offset:28
	s_cbranch_scc1 .LBB7_165
.LBB7_166:
	s_and_b32 s2, s48, 7
	s_mov_b32 s3, 0
	s_delay_alu instid0(SALU_CYCLE_1)
	s_cmp_eq_u64 s[2:3], 0
	s_cbranch_scc1 .LBB7_169
; %bb.167:
	s_mov_b64 s[4:5], s[2:3]
	s_set_inst_prefetch_distance 0x1
	.p2align	6
.LBB7_168:                              ; =>This Inner Loop Header: Depth=1
	s_lshl_b64 s[6:7], s[0:1], 2
	s_add_i32 s2, s0, 1
	v_add_co_u32 v4, vcc_lo, v0, s6
	v_add_co_ci_u32_e32 v5, vcc_lo, s7, v1, vcc_lo
	s_add_u32 s4, s4, -1
	s_addc_u32 s5, s5, -1
	s_mov_b64 s[0:1], s[2:3]
	flat_load_b32 v6, v[4:5]
	s_cmp_lg_u64 s[4:5], 0
	s_waitcnt vmcnt(0) lgkmcnt(0)
	v_div_scale_f32 v4, null, v34, v34, v6
	v_div_scale_f32 v8, vcc_lo, v6, v34, v6
	s_delay_alu instid0(VALU_DEP_2) | instskip(SKIP_2) | instid1(VALU_DEP_1)
	v_rcp_f32_e32 v5, v4
	s_waitcnt_depctr 0xfff
	v_fma_f32 v7, -v4, v5, 1.0
	v_fmac_f32_e32 v5, v7, v5
	s_delay_alu instid0(VALU_DEP_1) | instskip(NEXT) | instid1(VALU_DEP_1)
	v_mul_f32_e32 v7, v8, v5
	v_fma_f32 v9, -v4, v7, v8
	s_delay_alu instid0(VALU_DEP_1) | instskip(NEXT) | instid1(VALU_DEP_1)
	v_fmac_f32_e32 v7, v9, v5
	v_fma_f32 v4, -v4, v7, v8
	s_delay_alu instid0(VALU_DEP_1) | instskip(SKIP_2) | instid1(VALU_DEP_3)
	v_div_fmas_f32 v7, v4, v5, v7
	v_add_co_u32 v4, vcc_lo, v2, s6
	v_add_co_ci_u32_e32 v5, vcc_lo, s7, v3, vcc_lo
	v_div_fixup_f32 v6, v7, v34, v6
	global_store_b32 v[4:5], v6, off
	s_cbranch_scc1 .LBB7_168
.LBB7_169:
	s_set_inst_prefetch_distance 0x2
	s_nop 0
	s_sendmsg sendmsg(MSG_DEALLOC_VGPRS)
	s_endpgm
	.section	.rodata,"a",@progbits
	.p2align	6, 0x0
	.amdhsa_kernel _Z21moe_fused_gate_kernelItLi24ELi192ELi8ELi1EEvPvS0_PfPilllldi
		.amdhsa_group_segment_fixed_size 0
		.amdhsa_private_segment_fixed_size 0
		.amdhsa_kernarg_size 76
		.amdhsa_user_sgpr_count 15
		.amdhsa_user_sgpr_dispatch_ptr 0
		.amdhsa_user_sgpr_queue_ptr 0
		.amdhsa_user_sgpr_kernarg_segment_ptr 1
		.amdhsa_user_sgpr_dispatch_id 0
		.amdhsa_user_sgpr_private_segment_size 0
		.amdhsa_wavefront_size32 1
		.amdhsa_uses_dynamic_stack 0
		.amdhsa_enable_private_segment 0
		.amdhsa_system_sgpr_workgroup_id_x 1
		.amdhsa_system_sgpr_workgroup_id_y 0
		.amdhsa_system_sgpr_workgroup_id_z 0
		.amdhsa_system_sgpr_workgroup_info 0
		.amdhsa_system_vgpr_workitem_id 1
		.amdhsa_next_free_vgpr 80
		.amdhsa_next_free_sgpr 52
		.amdhsa_reserve_vcc 1
		.amdhsa_float_round_mode_32 0
		.amdhsa_float_round_mode_16_64 0
		.amdhsa_float_denorm_mode_32 3
		.amdhsa_float_denorm_mode_16_64 3
		.amdhsa_dx10_clamp 1
		.amdhsa_ieee_mode 1
		.amdhsa_fp16_overflow 0
		.amdhsa_workgroup_processor_mode 1
		.amdhsa_memory_ordered 1
		.amdhsa_forward_progress 0
		.amdhsa_shared_vgpr_count 0
		.amdhsa_exception_fp_ieee_invalid_op 0
		.amdhsa_exception_fp_denorm_src 0
		.amdhsa_exception_fp_ieee_div_zero 0
		.amdhsa_exception_fp_ieee_overflow 0
		.amdhsa_exception_fp_ieee_underflow 0
		.amdhsa_exception_fp_ieee_inexact 0
		.amdhsa_exception_int_div_zero 0
	.end_amdhsa_kernel
	.section	.text._Z21moe_fused_gate_kernelItLi24ELi192ELi8ELi1EEvPvS0_PfPilllldi,"axG",@progbits,_Z21moe_fused_gate_kernelItLi24ELi192ELi8ELi1EEvPvS0_PfPilllldi,comdat
.Lfunc_end7:
	.size	_Z21moe_fused_gate_kernelItLi24ELi192ELi8ELi1EEvPvS0_PfPilllldi, .Lfunc_end7-_Z21moe_fused_gate_kernelItLi24ELi192ELi8ELi1EEvPvS0_PfPilllldi
                                        ; -- End function
	.section	.AMDGPU.csdata,"",@progbits
; Kernel info:
; codeLenInByte = 11240
; NumSgprs: 54
; NumVgprs: 80
; ScratchSize: 0
; MemoryBound: 1
; FloatMode: 240
; IeeeMode: 1
; LDSByteSize: 0 bytes/workgroup (compile time only)
; SGPRBlocks: 6
; VGPRBlocks: 9
; NumSGPRsForWavesPerEU: 54
; NumVGPRsForWavesPerEU: 80
; Occupancy: 16
; WaveLimiterHint : 0
; COMPUTE_PGM_RSRC2:SCRATCH_EN: 0
; COMPUTE_PGM_RSRC2:USER_SGPR: 15
; COMPUTE_PGM_RSRC2:TRAP_HANDLER: 0
; COMPUTE_PGM_RSRC2:TGID_X_EN: 1
; COMPUTE_PGM_RSRC2:TGID_Y_EN: 0
; COMPUTE_PGM_RSRC2:TGID_Z_EN: 0
; COMPUTE_PGM_RSRC2:TIDIG_COMP_CNT: 1
	.section	.text._Z21moe_fused_gate_kernelIDF16_Li24ELi192ELi8ELi1EEvPvS0_PfPilllldi,"axG",@progbits,_Z21moe_fused_gate_kernelIDF16_Li24ELi192ELi8ELi1EEvPvS0_PfPilllldi,comdat
	.protected	_Z21moe_fused_gate_kernelIDF16_Li24ELi192ELi8ELi1EEvPvS0_PfPilllldi ; -- Begin function _Z21moe_fused_gate_kernelIDF16_Li24ELi192ELi8ELi1EEvPvS0_PfPilllldi
	.globl	_Z21moe_fused_gate_kernelIDF16_Li24ELi192ELi8ELi1EEvPvS0_PfPilllldi
	.p2align	8
	.type	_Z21moe_fused_gate_kernelIDF16_Li24ELi192ELi8ELi1EEvPvS0_PfPilllldi,@function
_Z21moe_fused_gate_kernelIDF16_Li24ELi192ELi8ELi1EEvPvS0_PfPilllldi: ; @_Z21moe_fused_gate_kernelIDF16_Li24ELi192ELi8ELi1EEvPvS0_PfPilllldi
; %bb.0:
	s_load_b512 s[36:51], s[0:1], 0x0
	v_bfe_u32 v1, v0, 10, 10
	s_mov_b32 s2, exec_lo
	v_mov_b32_e32 v28, 0
	v_and_b32_e32 v0, 0x3ff, v0
	s_delay_alu instid0(VALU_DEP_3) | instskip(NEXT) | instid1(VALU_DEP_3)
	v_add_nc_u32_e32 v1, s15, v1
	v_mov_b32_e32 v25, v28
	s_delay_alu instid0(VALU_DEP_3) | instskip(NEXT) | instid1(VALU_DEP_1)
	v_lshrrev_b32_e32 v33, 3, v0
	v_lshl_add_u32 v24, v1, 2, v33
	s_waitcnt lgkmcnt(0)
	s_delay_alu instid0(VALU_DEP_1)
	v_cmpx_gt_i64_e64 s[44:45], v[24:25]
	s_cbranch_execz .LBB8_169
; %bb.1:
	v_and_b32_e32 v26, 7, v0
	v_mad_u64_u32 v[0:1], null, 0x180, v24, s[36:37]
	s_mov_b32 s2, exec_lo
	s_delay_alu instid0(VALU_DEP_2) | instskip(NEXT) | instid1(VALU_DEP_1)
	v_mul_u32_u24_e32 v27, 24, v26
	v_lshlrev_b32_e32 v8, 1, v27
	s_delay_alu instid0(VALU_DEP_1) | instskip(NEXT) | instid1(VALU_DEP_4)
	v_add_co_u32 v0, vcc_lo, v0, v8
	v_add_co_ci_u32_e32 v1, vcc_lo, 0, v1, vcc_lo
	s_clause 0x2
	global_load_b128 v[20:23], v[0:1], off
	global_load_b128 v[16:19], v[0:1], off offset:16
	global_load_b128 v[12:15], v[0:1], off offset:32
	s_clause 0x2
	global_load_b128 v[0:3], v8, s[38:39] offset:32
	global_load_b128 v[4:7], v8, s[38:39] offset:16
	global_load_b128 v[8:11], v8, s[38:39]
	s_waitcnt vmcnt(5)
	v_cmpx_o_f16_e32 v20, v20
	s_cbranch_execz .LBB8_3
; %bb.2:
	v_cvt_f32_f16_e64 v28, -v20
	s_mov_b32 s3, 0x3fb8aa3b
	s_delay_alu instid0(VALU_DEP_1) | instskip(SKIP_1) | instid1(VALU_DEP_2)
	v_mul_f32_e32 v29, 0x3fb8aa3b, v28
	v_cmp_ngt_f32_e32 vcc_lo, 0xc2ce8ed0, v28
	v_rndne_f32_e32 v30, v29
	v_fma_mix_f32 v31, -v20, s3, -v29 op_sel_hi:[1,0,0]
	s_mov_b32 s3, 0x32a5705f
	s_delay_alu instid0(VALU_DEP_2) | instskip(NEXT) | instid1(VALU_DEP_2)
	v_sub_f32_e32 v29, v29, v30
	v_fma_mix_f32 v31, -v20, s3, v31 op_sel_hi:[1,0,0]
	v_cvt_i32_f32_e32 v30, v30
	s_delay_alu instid0(VALU_DEP_2) | instskip(NEXT) | instid1(VALU_DEP_1)
	v_add_f32_e32 v29, v29, v31
	v_exp_f32_e32 v29, v29
	s_waitcnt_depctr 0xfff
	v_ldexp_f32 v29, v29, v30
	s_delay_alu instid0(VALU_DEP_1) | instskip(SKIP_1) | instid1(VALU_DEP_2)
	v_cndmask_b32_e32 v29, 0, v29, vcc_lo
	v_cmp_nlt_f32_e32 vcc_lo, 0x42b17218, v28
	v_cndmask_b32_e32 v28, 0x7f800000, v29, vcc_lo
	s_delay_alu instid0(VALU_DEP_1) | instskip(NEXT) | instid1(VALU_DEP_1)
	v_add_f32_e32 v28, 1.0, v28
	v_div_scale_f32 v29, null, v28, v28, 1.0
	s_delay_alu instid0(VALU_DEP_1) | instskip(SKIP_2) | instid1(VALU_DEP_1)
	v_rcp_f32_e32 v30, v29
	s_waitcnt_depctr 0xfff
	v_fma_f32 v31, -v29, v30, 1.0
	v_fmac_f32_e32 v30, v31, v30
	v_div_scale_f32 v31, vcc_lo, 1.0, v28, 1.0
	s_delay_alu instid0(VALU_DEP_1) | instskip(NEXT) | instid1(VALU_DEP_1)
	v_mul_f32_e32 v32, v31, v30
	v_fma_f32 v34, -v29, v32, v31
	s_delay_alu instid0(VALU_DEP_1) | instskip(NEXT) | instid1(VALU_DEP_1)
	v_fmac_f32_e32 v32, v34, v30
	v_fma_f32 v29, -v29, v32, v31
	s_delay_alu instid0(VALU_DEP_1) | instskip(NEXT) | instid1(VALU_DEP_1)
	v_div_fmas_f32 v29, v29, v30, v32
	v_div_fixup_f32 v28, v29, v28, 1.0
.LBB8_3:
	s_or_b32 exec_lo, exec_lo, s2
	v_lshrrev_b32_e32 v30, 16, v20
	v_dual_mov_b32 v20, 0 :: v_dual_mov_b32 v29, 0
	s_mov_b32 s2, exec_lo
	s_delay_alu instid0(VALU_DEP_2)
	v_cmpx_o_f16_e32 v30, v30
	s_cbranch_execz .LBB8_5
; %bb.4:
	v_cvt_f32_f16_e64 v29, -v30
	s_mov_b32 s3, 0x3fb8aa3b
	s_delay_alu instid0(VALU_DEP_1) | instskip(SKIP_1) | instid1(VALU_DEP_1)
	v_cmp_ngt_f32_e32 vcc_lo, 0xc2ce8ed0, v29
	v_mul_f32_e32 v31, 0x3fb8aa3b, v29
	v_rndne_f32_e32 v32, v31
	v_fma_mix_f32 v34, -v30, s3, -v31 op_sel_hi:[1,0,0]
	s_mov_b32 s3, 0x32a5705f
	s_delay_alu instid0(VALU_DEP_2) | instskip(NEXT) | instid1(VALU_DEP_2)
	v_sub_f32_e32 v31, v31, v32
	v_fma_mix_f32 v30, -v30, s3, v34 op_sel_hi:[1,0,0]
	s_delay_alu instid0(VALU_DEP_1) | instskip(SKIP_1) | instid1(VALU_DEP_2)
	v_add_f32_e32 v30, v31, v30
	v_cvt_i32_f32_e32 v31, v32
	v_exp_f32_e32 v30, v30
	s_waitcnt_depctr 0xfff
	v_ldexp_f32 v30, v30, v31
	s_delay_alu instid0(VALU_DEP_1) | instskip(SKIP_1) | instid1(VALU_DEP_2)
	v_cndmask_b32_e32 v30, 0, v30, vcc_lo
	v_cmp_nlt_f32_e32 vcc_lo, 0x42b17218, v29
	v_cndmask_b32_e32 v29, 0x7f800000, v30, vcc_lo
	s_delay_alu instid0(VALU_DEP_1) | instskip(NEXT) | instid1(VALU_DEP_1)
	v_add_f32_e32 v29, 1.0, v29
	v_div_scale_f32 v30, null, v29, v29, 1.0
	s_delay_alu instid0(VALU_DEP_1) | instskip(SKIP_2) | instid1(VALU_DEP_1)
	v_rcp_f32_e32 v31, v30
	s_waitcnt_depctr 0xfff
	v_fma_f32 v32, -v30, v31, 1.0
	v_fmac_f32_e32 v31, v32, v31
	v_div_scale_f32 v32, vcc_lo, 1.0, v29, 1.0
	s_delay_alu instid0(VALU_DEP_1) | instskip(NEXT) | instid1(VALU_DEP_1)
	v_mul_f32_e32 v34, v32, v31
	v_fma_f32 v35, -v30, v34, v32
	s_delay_alu instid0(VALU_DEP_1) | instskip(NEXT) | instid1(VALU_DEP_1)
	v_fmac_f32_e32 v34, v35, v31
	v_fma_f32 v30, -v30, v34, v32
	s_delay_alu instid0(VALU_DEP_1) | instskip(NEXT) | instid1(VALU_DEP_1)
	v_div_fmas_f32 v30, v30, v31, v34
	v_div_fixup_f32 v29, v30, v29, 1.0
.LBB8_5:
	s_or_b32 exec_lo, exec_lo, s2
	s_delay_alu instid0(SALU_CYCLE_1)
	s_mov_b32 s2, exec_lo
	v_cmpx_o_f16_e32 v21, v21
	s_cbranch_execz .LBB8_7
; %bb.6:
	v_cvt_f32_f16_e64 v20, -v21
	s_mov_b32 s3, 0x3fb8aa3b
	s_delay_alu instid0(VALU_DEP_1) | instskip(SKIP_1) | instid1(VALU_DEP_2)
	v_mul_f32_e32 v30, 0x3fb8aa3b, v20
	v_cmp_ngt_f32_e32 vcc_lo, 0xc2ce8ed0, v20
	v_rndne_f32_e32 v31, v30
	v_fma_mix_f32 v32, -v21, s3, -v30 op_sel_hi:[1,0,0]
	s_mov_b32 s3, 0x32a5705f
	s_delay_alu instid0(VALU_DEP_2) | instskip(NEXT) | instid1(VALU_DEP_2)
	v_sub_f32_e32 v30, v30, v31
	v_fma_mix_f32 v32, -v21, s3, v32 op_sel_hi:[1,0,0]
	v_cvt_i32_f32_e32 v31, v31
	s_delay_alu instid0(VALU_DEP_2) | instskip(NEXT) | instid1(VALU_DEP_1)
	v_add_f32_e32 v30, v30, v32
	v_exp_f32_e32 v30, v30
	s_waitcnt_depctr 0xfff
	v_ldexp_f32 v30, v30, v31
	s_delay_alu instid0(VALU_DEP_1) | instskip(SKIP_1) | instid1(VALU_DEP_2)
	v_cndmask_b32_e32 v30, 0, v30, vcc_lo
	v_cmp_nlt_f32_e32 vcc_lo, 0x42b17218, v20
	v_cndmask_b32_e32 v20, 0x7f800000, v30, vcc_lo
	s_delay_alu instid0(VALU_DEP_1) | instskip(NEXT) | instid1(VALU_DEP_1)
	v_add_f32_e32 v20, 1.0, v20
	v_div_scale_f32 v30, null, v20, v20, 1.0
	s_delay_alu instid0(VALU_DEP_1) | instskip(SKIP_2) | instid1(VALU_DEP_1)
	v_rcp_f32_e32 v31, v30
	s_waitcnt_depctr 0xfff
	v_fma_f32 v32, -v30, v31, 1.0
	v_fmac_f32_e32 v31, v32, v31
	v_div_scale_f32 v32, vcc_lo, 1.0, v20, 1.0
	s_delay_alu instid0(VALU_DEP_1) | instskip(NEXT) | instid1(VALU_DEP_1)
	v_mul_f32_e32 v34, v32, v31
	v_fma_f32 v35, -v30, v34, v32
	s_delay_alu instid0(VALU_DEP_1) | instskip(NEXT) | instid1(VALU_DEP_1)
	v_fmac_f32_e32 v34, v35, v31
	v_fma_f32 v30, -v30, v34, v32
	s_delay_alu instid0(VALU_DEP_1) | instskip(NEXT) | instid1(VALU_DEP_1)
	v_div_fmas_f32 v30, v30, v31, v34
	v_div_fixup_f32 v20, v30, v20, 1.0
.LBB8_7:
	s_or_b32 exec_lo, exec_lo, s2
	v_lshrrev_b32_e32 v31, 16, v21
	v_dual_mov_b32 v21, 0 :: v_dual_mov_b32 v30, 0
	s_mov_b32 s2, exec_lo
	s_delay_alu instid0(VALU_DEP_2)
	v_cmpx_o_f16_e32 v31, v31
	s_cbranch_execz .LBB8_9
; %bb.8:
	v_cvt_f32_f16_e64 v30, -v31
	s_mov_b32 s3, 0x3fb8aa3b
	s_delay_alu instid0(VALU_DEP_1) | instskip(SKIP_1) | instid1(VALU_DEP_1)
	v_cmp_ngt_f32_e32 vcc_lo, 0xc2ce8ed0, v30
	v_mul_f32_e32 v32, 0x3fb8aa3b, v30
	v_rndne_f32_e32 v34, v32
	v_fma_mix_f32 v35, -v31, s3, -v32 op_sel_hi:[1,0,0]
	s_mov_b32 s3, 0x32a5705f
	s_delay_alu instid0(VALU_DEP_2) | instskip(NEXT) | instid1(VALU_DEP_2)
	v_sub_f32_e32 v32, v32, v34
	v_fma_mix_f32 v31, -v31, s3, v35 op_sel_hi:[1,0,0]
	s_delay_alu instid0(VALU_DEP_1) | instskip(SKIP_1) | instid1(VALU_DEP_2)
	v_add_f32_e32 v31, v32, v31
	v_cvt_i32_f32_e32 v32, v34
	v_exp_f32_e32 v31, v31
	s_waitcnt_depctr 0xfff
	v_ldexp_f32 v31, v31, v32
	s_delay_alu instid0(VALU_DEP_1) | instskip(SKIP_1) | instid1(VALU_DEP_2)
	v_cndmask_b32_e32 v31, 0, v31, vcc_lo
	v_cmp_nlt_f32_e32 vcc_lo, 0x42b17218, v30
	v_cndmask_b32_e32 v30, 0x7f800000, v31, vcc_lo
	s_delay_alu instid0(VALU_DEP_1) | instskip(NEXT) | instid1(VALU_DEP_1)
	v_add_f32_e32 v30, 1.0, v30
	v_div_scale_f32 v31, null, v30, v30, 1.0
	s_delay_alu instid0(VALU_DEP_1) | instskip(SKIP_2) | instid1(VALU_DEP_1)
	v_rcp_f32_e32 v32, v31
	s_waitcnt_depctr 0xfff
	v_fma_f32 v34, -v31, v32, 1.0
	v_fmac_f32_e32 v32, v34, v32
	v_div_scale_f32 v34, vcc_lo, 1.0, v30, 1.0
	s_delay_alu instid0(VALU_DEP_1) | instskip(NEXT) | instid1(VALU_DEP_1)
	v_mul_f32_e32 v35, v34, v32
	v_fma_f32 v36, -v31, v35, v34
	s_delay_alu instid0(VALU_DEP_1) | instskip(NEXT) | instid1(VALU_DEP_1)
	v_fmac_f32_e32 v35, v36, v32
	v_fma_f32 v31, -v31, v35, v34
	s_delay_alu instid0(VALU_DEP_1) | instskip(NEXT) | instid1(VALU_DEP_1)
	v_div_fmas_f32 v31, v31, v32, v35
	v_div_fixup_f32 v30, v31, v30, 1.0
.LBB8_9:
	s_or_b32 exec_lo, exec_lo, s2
	s_delay_alu instid0(SALU_CYCLE_1)
	s_mov_b32 s2, exec_lo
	v_cmpx_o_f16_e32 v22, v22
	s_cbranch_execz .LBB8_11
; %bb.10:
	v_cvt_f32_f16_e64 v21, -v22
	s_mov_b32 s3, 0x3fb8aa3b
	s_delay_alu instid0(VALU_DEP_1) | instskip(SKIP_1) | instid1(VALU_DEP_2)
	v_mul_f32_e32 v31, 0x3fb8aa3b, v21
	v_cmp_ngt_f32_e32 vcc_lo, 0xc2ce8ed0, v21
	v_rndne_f32_e32 v32, v31
	v_fma_mix_f32 v34, -v22, s3, -v31 op_sel_hi:[1,0,0]
	s_mov_b32 s3, 0x32a5705f
	s_delay_alu instid0(VALU_DEP_2) | instskip(NEXT) | instid1(VALU_DEP_2)
	v_sub_f32_e32 v31, v31, v32
	v_fma_mix_f32 v34, -v22, s3, v34 op_sel_hi:[1,0,0]
	v_cvt_i32_f32_e32 v32, v32
	s_delay_alu instid0(VALU_DEP_2) | instskip(NEXT) | instid1(VALU_DEP_1)
	v_add_f32_e32 v31, v31, v34
	v_exp_f32_e32 v31, v31
	s_waitcnt_depctr 0xfff
	v_ldexp_f32 v31, v31, v32
	s_delay_alu instid0(VALU_DEP_1) | instskip(SKIP_1) | instid1(VALU_DEP_2)
	v_cndmask_b32_e32 v31, 0, v31, vcc_lo
	v_cmp_nlt_f32_e32 vcc_lo, 0x42b17218, v21
	v_cndmask_b32_e32 v21, 0x7f800000, v31, vcc_lo
	s_delay_alu instid0(VALU_DEP_1) | instskip(NEXT) | instid1(VALU_DEP_1)
	v_add_f32_e32 v21, 1.0, v21
	v_div_scale_f32 v31, null, v21, v21, 1.0
	s_delay_alu instid0(VALU_DEP_1) | instskip(SKIP_2) | instid1(VALU_DEP_1)
	v_rcp_f32_e32 v32, v31
	s_waitcnt_depctr 0xfff
	v_fma_f32 v34, -v31, v32, 1.0
	v_fmac_f32_e32 v32, v34, v32
	v_div_scale_f32 v34, vcc_lo, 1.0, v21, 1.0
	s_delay_alu instid0(VALU_DEP_1) | instskip(NEXT) | instid1(VALU_DEP_1)
	v_mul_f32_e32 v35, v34, v32
	v_fma_f32 v36, -v31, v35, v34
	s_delay_alu instid0(VALU_DEP_1) | instskip(NEXT) | instid1(VALU_DEP_1)
	v_fmac_f32_e32 v35, v36, v32
	v_fma_f32 v31, -v31, v35, v34
	s_delay_alu instid0(VALU_DEP_1) | instskip(NEXT) | instid1(VALU_DEP_1)
	v_div_fmas_f32 v31, v31, v32, v35
	v_div_fixup_f32 v21, v31, v21, 1.0
.LBB8_11:
	s_or_b32 exec_lo, exec_lo, s2
	v_lshrrev_b32_e32 v32, 16, v22
	v_dual_mov_b32 v22, 0 :: v_dual_mov_b32 v31, 0
	s_mov_b32 s2, exec_lo
	s_delay_alu instid0(VALU_DEP_2)
	v_cmpx_o_f16_e32 v32, v32
	s_cbranch_execz .LBB8_13
; %bb.12:
	v_cvt_f32_f16_e64 v31, -v32
	s_mov_b32 s3, 0x3fb8aa3b
	s_delay_alu instid0(VALU_DEP_1) | instskip(SKIP_1) | instid1(VALU_DEP_2)
	v_mul_f32_e32 v34, 0x3fb8aa3b, v31
	v_cmp_ngt_f32_e32 vcc_lo, 0xc2ce8ed0, v31
	v_rndne_f32_e32 v35, v34
	v_fma_mix_f32 v36, -v32, s3, -v34 op_sel_hi:[1,0,0]
	s_mov_b32 s3, 0x32a5705f
	s_delay_alu instid0(VALU_DEP_2) | instskip(NEXT) | instid1(VALU_DEP_2)
	v_sub_f32_e32 v34, v34, v35
	v_fma_mix_f32 v32, -v32, s3, v36 op_sel_hi:[1,0,0]
	s_delay_alu instid0(VALU_DEP_1) | instskip(SKIP_1) | instid1(VALU_DEP_2)
	v_add_f32_e32 v32, v34, v32
	v_cvt_i32_f32_e32 v34, v35
	v_exp_f32_e32 v32, v32
	s_waitcnt_depctr 0xfff
	v_ldexp_f32 v32, v32, v34
	s_delay_alu instid0(VALU_DEP_1) | instskip(SKIP_1) | instid1(VALU_DEP_2)
	v_cndmask_b32_e32 v32, 0, v32, vcc_lo
	v_cmp_nlt_f32_e32 vcc_lo, 0x42b17218, v31
	v_cndmask_b32_e32 v31, 0x7f800000, v32, vcc_lo
	s_delay_alu instid0(VALU_DEP_1) | instskip(NEXT) | instid1(VALU_DEP_1)
	v_add_f32_e32 v31, 1.0, v31
	v_div_scale_f32 v32, null, v31, v31, 1.0
	s_delay_alu instid0(VALU_DEP_1) | instskip(SKIP_2) | instid1(VALU_DEP_1)
	v_rcp_f32_e32 v34, v32
	s_waitcnt_depctr 0xfff
	v_fma_f32 v35, -v32, v34, 1.0
	v_fmac_f32_e32 v34, v35, v34
	v_div_scale_f32 v35, vcc_lo, 1.0, v31, 1.0
	s_delay_alu instid0(VALU_DEP_1) | instskip(NEXT) | instid1(VALU_DEP_1)
	v_mul_f32_e32 v36, v35, v34
	v_fma_f32 v37, -v32, v36, v35
	s_delay_alu instid0(VALU_DEP_1) | instskip(NEXT) | instid1(VALU_DEP_1)
	v_fmac_f32_e32 v36, v37, v34
	v_fma_f32 v32, -v32, v36, v35
	s_delay_alu instid0(VALU_DEP_1) | instskip(NEXT) | instid1(VALU_DEP_1)
	v_div_fmas_f32 v32, v32, v34, v36
	v_div_fixup_f32 v31, v32, v31, 1.0
.LBB8_13:
	s_or_b32 exec_lo, exec_lo, s2
	s_delay_alu instid0(SALU_CYCLE_1)
	s_mov_b32 s2, exec_lo
	v_cmpx_o_f16_e32 v23, v23
	s_cbranch_execz .LBB8_15
; %bb.14:
	v_cvt_f32_f16_e64 v22, -v23
	s_mov_b32 s3, 0x3fb8aa3b
	s_delay_alu instid0(VALU_DEP_1) | instskip(SKIP_1) | instid1(VALU_DEP_2)
	v_mul_f32_e32 v32, 0x3fb8aa3b, v22
	v_cmp_ngt_f32_e32 vcc_lo, 0xc2ce8ed0, v22
	v_rndne_f32_e32 v34, v32
	v_fma_mix_f32 v35, -v23, s3, -v32 op_sel_hi:[1,0,0]
	s_mov_b32 s3, 0x32a5705f
	s_delay_alu instid0(VALU_DEP_2) | instskip(NEXT) | instid1(VALU_DEP_2)
	v_sub_f32_e32 v32, v32, v34
	v_fma_mix_f32 v35, -v23, s3, v35 op_sel_hi:[1,0,0]
	v_cvt_i32_f32_e32 v34, v34
	s_delay_alu instid0(VALU_DEP_2) | instskip(NEXT) | instid1(VALU_DEP_1)
	v_add_f32_e32 v32, v32, v35
	v_exp_f32_e32 v32, v32
	s_waitcnt_depctr 0xfff
	v_ldexp_f32 v32, v32, v34
	s_delay_alu instid0(VALU_DEP_1) | instskip(SKIP_1) | instid1(VALU_DEP_2)
	v_cndmask_b32_e32 v32, 0, v32, vcc_lo
	v_cmp_nlt_f32_e32 vcc_lo, 0x42b17218, v22
	v_cndmask_b32_e32 v22, 0x7f800000, v32, vcc_lo
	s_delay_alu instid0(VALU_DEP_1) | instskip(NEXT) | instid1(VALU_DEP_1)
	v_add_f32_e32 v22, 1.0, v22
	v_div_scale_f32 v32, null, v22, v22, 1.0
	s_delay_alu instid0(VALU_DEP_1) | instskip(SKIP_2) | instid1(VALU_DEP_1)
	v_rcp_f32_e32 v34, v32
	s_waitcnt_depctr 0xfff
	v_fma_f32 v35, -v32, v34, 1.0
	v_fmac_f32_e32 v34, v35, v34
	v_div_scale_f32 v35, vcc_lo, 1.0, v22, 1.0
	s_delay_alu instid0(VALU_DEP_1) | instskip(NEXT) | instid1(VALU_DEP_1)
	v_mul_f32_e32 v36, v35, v34
	v_fma_f32 v37, -v32, v36, v35
	s_delay_alu instid0(VALU_DEP_1) | instskip(NEXT) | instid1(VALU_DEP_1)
	v_fmac_f32_e32 v36, v37, v34
	v_fma_f32 v32, -v32, v36, v35
	s_delay_alu instid0(VALU_DEP_1) | instskip(NEXT) | instid1(VALU_DEP_1)
	v_div_fmas_f32 v32, v32, v34, v36
	v_div_fixup_f32 v22, v32, v22, 1.0
.LBB8_15:
	s_or_b32 exec_lo, exec_lo, s2
	v_lshrrev_b32_e32 v34, 16, v23
	v_dual_mov_b32 v23, 0 :: v_dual_mov_b32 v32, 0
	s_mov_b32 s2, exec_lo
	s_delay_alu instid0(VALU_DEP_2)
	v_cmpx_o_f16_e32 v34, v34
	s_cbranch_execz .LBB8_17
; %bb.16:
	v_cvt_f32_f16_e64 v32, -v34
	s_mov_b32 s3, 0x3fb8aa3b
	s_delay_alu instid0(VALU_DEP_1) | instskip(SKIP_1) | instid1(VALU_DEP_1)
	v_cmp_ngt_f32_e32 vcc_lo, 0xc2ce8ed0, v32
	v_mul_f32_e32 v35, 0x3fb8aa3b, v32
	v_rndne_f32_e32 v36, v35
	v_fma_mix_f32 v37, -v34, s3, -v35 op_sel_hi:[1,0,0]
	s_mov_b32 s3, 0x32a5705f
	s_delay_alu instid0(VALU_DEP_2) | instskip(NEXT) | instid1(VALU_DEP_2)
	v_sub_f32_e32 v35, v35, v36
	v_fma_mix_f32 v34, -v34, s3, v37 op_sel_hi:[1,0,0]
	s_delay_alu instid0(VALU_DEP_1) | instskip(SKIP_1) | instid1(VALU_DEP_2)
	v_add_f32_e32 v34, v35, v34
	v_cvt_i32_f32_e32 v35, v36
	v_exp_f32_e32 v34, v34
	s_waitcnt_depctr 0xfff
	v_ldexp_f32 v34, v34, v35
	s_delay_alu instid0(VALU_DEP_1) | instskip(SKIP_1) | instid1(VALU_DEP_2)
	v_cndmask_b32_e32 v34, 0, v34, vcc_lo
	v_cmp_nlt_f32_e32 vcc_lo, 0x42b17218, v32
	v_cndmask_b32_e32 v32, 0x7f800000, v34, vcc_lo
	s_delay_alu instid0(VALU_DEP_1) | instskip(NEXT) | instid1(VALU_DEP_1)
	v_add_f32_e32 v32, 1.0, v32
	v_div_scale_f32 v34, null, v32, v32, 1.0
	s_delay_alu instid0(VALU_DEP_1) | instskip(SKIP_2) | instid1(VALU_DEP_1)
	v_rcp_f32_e32 v35, v34
	s_waitcnt_depctr 0xfff
	v_fma_f32 v36, -v34, v35, 1.0
	v_fmac_f32_e32 v35, v36, v35
	v_div_scale_f32 v36, vcc_lo, 1.0, v32, 1.0
	s_delay_alu instid0(VALU_DEP_1) | instskip(NEXT) | instid1(VALU_DEP_1)
	v_mul_f32_e32 v37, v36, v35
	v_fma_f32 v38, -v34, v37, v36
	s_delay_alu instid0(VALU_DEP_1) | instskip(NEXT) | instid1(VALU_DEP_1)
	v_fmac_f32_e32 v37, v38, v35
	v_fma_f32 v34, -v34, v37, v36
	s_delay_alu instid0(VALU_DEP_1) | instskip(NEXT) | instid1(VALU_DEP_1)
	v_div_fmas_f32 v34, v34, v35, v37
	v_div_fixup_f32 v32, v34, v32, 1.0
.LBB8_17:
	s_or_b32 exec_lo, exec_lo, s2
	s_delay_alu instid0(SALU_CYCLE_1)
	s_mov_b32 s2, exec_lo
	s_waitcnt vmcnt(4)
	v_cmpx_o_f16_e32 v16, v16
	s_cbranch_execz .LBB8_19
; %bb.18:
	v_cvt_f32_f16_e64 v23, -v16
	s_mov_b32 s3, 0x3fb8aa3b
	s_delay_alu instid0(VALU_DEP_1) | instskip(SKIP_1) | instid1(VALU_DEP_2)
	v_mul_f32_e32 v34, 0x3fb8aa3b, v23
	v_cmp_ngt_f32_e32 vcc_lo, 0xc2ce8ed0, v23
	v_rndne_f32_e32 v35, v34
	v_fma_mix_f32 v36, -v16, s3, -v34 op_sel_hi:[1,0,0]
	s_mov_b32 s3, 0x32a5705f
	s_delay_alu instid0(VALU_DEP_2) | instskip(NEXT) | instid1(VALU_DEP_2)
	v_sub_f32_e32 v34, v34, v35
	v_fma_mix_f32 v36, -v16, s3, v36 op_sel_hi:[1,0,0]
	v_cvt_i32_f32_e32 v35, v35
	s_delay_alu instid0(VALU_DEP_2) | instskip(NEXT) | instid1(VALU_DEP_1)
	v_add_f32_e32 v34, v34, v36
	v_exp_f32_e32 v34, v34
	s_waitcnt_depctr 0xfff
	v_ldexp_f32 v34, v34, v35
	s_delay_alu instid0(VALU_DEP_1) | instskip(SKIP_1) | instid1(VALU_DEP_2)
	v_cndmask_b32_e32 v34, 0, v34, vcc_lo
	v_cmp_nlt_f32_e32 vcc_lo, 0x42b17218, v23
	v_cndmask_b32_e32 v23, 0x7f800000, v34, vcc_lo
	s_delay_alu instid0(VALU_DEP_1) | instskip(NEXT) | instid1(VALU_DEP_1)
	v_add_f32_e32 v23, 1.0, v23
	v_div_scale_f32 v34, null, v23, v23, 1.0
	s_delay_alu instid0(VALU_DEP_1) | instskip(SKIP_2) | instid1(VALU_DEP_1)
	v_rcp_f32_e32 v35, v34
	s_waitcnt_depctr 0xfff
	v_fma_f32 v36, -v34, v35, 1.0
	v_fmac_f32_e32 v35, v36, v35
	v_div_scale_f32 v36, vcc_lo, 1.0, v23, 1.0
	s_delay_alu instid0(VALU_DEP_1) | instskip(NEXT) | instid1(VALU_DEP_1)
	v_mul_f32_e32 v37, v36, v35
	v_fma_f32 v38, -v34, v37, v36
	s_delay_alu instid0(VALU_DEP_1) | instskip(NEXT) | instid1(VALU_DEP_1)
	v_fmac_f32_e32 v37, v38, v35
	v_fma_f32 v34, -v34, v37, v36
	s_delay_alu instid0(VALU_DEP_1) | instskip(NEXT) | instid1(VALU_DEP_1)
	v_div_fmas_f32 v34, v34, v35, v37
	v_div_fixup_f32 v23, v34, v23, 1.0
.LBB8_19:
	s_or_b32 exec_lo, exec_lo, s2
	v_lshrrev_b32_e32 v35, 16, v16
	v_mov_b32_e32 v16, 0
	v_mov_b32_e32 v34, 0
	s_mov_b32 s2, exec_lo
	s_delay_alu instid0(VALU_DEP_3)
	v_cmpx_o_f16_e32 v35, v35
	s_cbranch_execz .LBB8_21
; %bb.20:
	v_cvt_f32_f16_e64 v34, -v35
	s_mov_b32 s3, 0x3fb8aa3b
	s_delay_alu instid0(VALU_DEP_1) | instskip(SKIP_1) | instid1(VALU_DEP_1)
	v_cmp_ngt_f32_e32 vcc_lo, 0xc2ce8ed0, v34
	v_mul_f32_e32 v36, 0x3fb8aa3b, v34
	v_rndne_f32_e32 v37, v36
	v_fma_mix_f32 v38, -v35, s3, -v36 op_sel_hi:[1,0,0]
	s_mov_b32 s3, 0x32a5705f
	s_delay_alu instid0(VALU_DEP_2) | instskip(NEXT) | instid1(VALU_DEP_2)
	v_sub_f32_e32 v36, v36, v37
	v_fma_mix_f32 v35, -v35, s3, v38 op_sel_hi:[1,0,0]
	s_delay_alu instid0(VALU_DEP_1) | instskip(SKIP_1) | instid1(VALU_DEP_2)
	v_add_f32_e32 v35, v36, v35
	v_cvt_i32_f32_e32 v36, v37
	v_exp_f32_e32 v35, v35
	s_waitcnt_depctr 0xfff
	v_ldexp_f32 v35, v35, v36
	s_delay_alu instid0(VALU_DEP_1) | instskip(SKIP_1) | instid1(VALU_DEP_2)
	v_cndmask_b32_e32 v35, 0, v35, vcc_lo
	v_cmp_nlt_f32_e32 vcc_lo, 0x42b17218, v34
	v_cndmask_b32_e32 v34, 0x7f800000, v35, vcc_lo
	s_delay_alu instid0(VALU_DEP_1) | instskip(NEXT) | instid1(VALU_DEP_1)
	v_add_f32_e32 v34, 1.0, v34
	v_div_scale_f32 v35, null, v34, v34, 1.0
	s_delay_alu instid0(VALU_DEP_1) | instskip(SKIP_2) | instid1(VALU_DEP_1)
	v_rcp_f32_e32 v36, v35
	s_waitcnt_depctr 0xfff
	v_fma_f32 v37, -v35, v36, 1.0
	v_fmac_f32_e32 v36, v37, v36
	v_div_scale_f32 v37, vcc_lo, 1.0, v34, 1.0
	s_delay_alu instid0(VALU_DEP_1) | instskip(NEXT) | instid1(VALU_DEP_1)
	v_mul_f32_e32 v38, v37, v36
	v_fma_f32 v39, -v35, v38, v37
	s_delay_alu instid0(VALU_DEP_1) | instskip(NEXT) | instid1(VALU_DEP_1)
	v_fmac_f32_e32 v38, v39, v36
	v_fma_f32 v35, -v35, v38, v37
	s_delay_alu instid0(VALU_DEP_1) | instskip(NEXT) | instid1(VALU_DEP_1)
	v_div_fmas_f32 v35, v35, v36, v38
	v_div_fixup_f32 v34, v35, v34, 1.0
.LBB8_21:
	s_or_b32 exec_lo, exec_lo, s2
	s_delay_alu instid0(SALU_CYCLE_1)
	s_mov_b32 s2, exec_lo
	v_cmpx_o_f16_e32 v17, v17
	s_cbranch_execz .LBB8_23
; %bb.22:
	v_cvt_f32_f16_e64 v16, -v17
	s_mov_b32 s3, 0x3fb8aa3b
	s_delay_alu instid0(VALU_DEP_1) | instskip(SKIP_1) | instid1(VALU_DEP_2)
	v_mul_f32_e32 v35, 0x3fb8aa3b, v16
	v_cmp_ngt_f32_e32 vcc_lo, 0xc2ce8ed0, v16
	v_rndne_f32_e32 v36, v35
	v_fma_mix_f32 v37, -v17, s3, -v35 op_sel_hi:[1,0,0]
	s_mov_b32 s3, 0x32a5705f
	s_delay_alu instid0(VALU_DEP_2) | instskip(NEXT) | instid1(VALU_DEP_2)
	v_sub_f32_e32 v35, v35, v36
	v_fma_mix_f32 v37, -v17, s3, v37 op_sel_hi:[1,0,0]
	v_cvt_i32_f32_e32 v36, v36
	s_delay_alu instid0(VALU_DEP_2) | instskip(NEXT) | instid1(VALU_DEP_1)
	v_add_f32_e32 v35, v35, v37
	v_exp_f32_e32 v35, v35
	s_waitcnt_depctr 0xfff
	v_ldexp_f32 v35, v35, v36
	s_delay_alu instid0(VALU_DEP_1) | instskip(SKIP_1) | instid1(VALU_DEP_2)
	v_cndmask_b32_e32 v35, 0, v35, vcc_lo
	v_cmp_nlt_f32_e32 vcc_lo, 0x42b17218, v16
	v_cndmask_b32_e32 v16, 0x7f800000, v35, vcc_lo
	s_delay_alu instid0(VALU_DEP_1) | instskip(NEXT) | instid1(VALU_DEP_1)
	v_add_f32_e32 v16, 1.0, v16
	v_div_scale_f32 v35, null, v16, v16, 1.0
	s_delay_alu instid0(VALU_DEP_1) | instskip(SKIP_2) | instid1(VALU_DEP_1)
	v_rcp_f32_e32 v36, v35
	s_waitcnt_depctr 0xfff
	v_fma_f32 v37, -v35, v36, 1.0
	v_fmac_f32_e32 v36, v37, v36
	v_div_scale_f32 v37, vcc_lo, 1.0, v16, 1.0
	s_delay_alu instid0(VALU_DEP_1) | instskip(NEXT) | instid1(VALU_DEP_1)
	v_mul_f32_e32 v38, v37, v36
	v_fma_f32 v39, -v35, v38, v37
	s_delay_alu instid0(VALU_DEP_1) | instskip(NEXT) | instid1(VALU_DEP_1)
	v_fmac_f32_e32 v38, v39, v36
	v_fma_f32 v35, -v35, v38, v37
	s_delay_alu instid0(VALU_DEP_1) | instskip(NEXT) | instid1(VALU_DEP_1)
	v_div_fmas_f32 v35, v35, v36, v38
	v_div_fixup_f32 v16, v35, v16, 1.0
.LBB8_23:
	s_or_b32 exec_lo, exec_lo, s2
	v_lshrrev_b32_e32 v36, 16, v17
	v_mov_b32_e32 v17, 0
	v_mov_b32_e32 v35, 0
	s_mov_b32 s2, exec_lo
	s_delay_alu instid0(VALU_DEP_3)
	v_cmpx_o_f16_e32 v36, v36
	s_cbranch_execz .LBB8_25
; %bb.24:
	v_cvt_f32_f16_e64 v35, -v36
	s_mov_b32 s3, 0x3fb8aa3b
	s_delay_alu instid0(VALU_DEP_1) | instskip(SKIP_1) | instid1(VALU_DEP_1)
	v_cmp_ngt_f32_e32 vcc_lo, 0xc2ce8ed0, v35
	v_mul_f32_e32 v37, 0x3fb8aa3b, v35
	v_rndne_f32_e32 v38, v37
	v_fma_mix_f32 v39, -v36, s3, -v37 op_sel_hi:[1,0,0]
	s_mov_b32 s3, 0x32a5705f
	s_delay_alu instid0(VALU_DEP_2) | instskip(NEXT) | instid1(VALU_DEP_2)
	v_sub_f32_e32 v37, v37, v38
	v_fma_mix_f32 v36, -v36, s3, v39 op_sel_hi:[1,0,0]
	s_delay_alu instid0(VALU_DEP_1) | instskip(SKIP_1) | instid1(VALU_DEP_2)
	v_add_f32_e32 v36, v37, v36
	v_cvt_i32_f32_e32 v37, v38
	v_exp_f32_e32 v36, v36
	s_waitcnt_depctr 0xfff
	v_ldexp_f32 v36, v36, v37
	s_delay_alu instid0(VALU_DEP_1) | instskip(SKIP_1) | instid1(VALU_DEP_2)
	v_cndmask_b32_e32 v36, 0, v36, vcc_lo
	v_cmp_nlt_f32_e32 vcc_lo, 0x42b17218, v35
	v_cndmask_b32_e32 v35, 0x7f800000, v36, vcc_lo
	s_delay_alu instid0(VALU_DEP_1) | instskip(NEXT) | instid1(VALU_DEP_1)
	v_add_f32_e32 v35, 1.0, v35
	v_div_scale_f32 v36, null, v35, v35, 1.0
	s_delay_alu instid0(VALU_DEP_1) | instskip(SKIP_2) | instid1(VALU_DEP_1)
	v_rcp_f32_e32 v37, v36
	s_waitcnt_depctr 0xfff
	v_fma_f32 v38, -v36, v37, 1.0
	v_fmac_f32_e32 v37, v38, v37
	v_div_scale_f32 v38, vcc_lo, 1.0, v35, 1.0
	s_delay_alu instid0(VALU_DEP_1) | instskip(NEXT) | instid1(VALU_DEP_1)
	v_mul_f32_e32 v39, v38, v37
	v_fma_f32 v40, -v36, v39, v38
	s_delay_alu instid0(VALU_DEP_1) | instskip(NEXT) | instid1(VALU_DEP_1)
	v_fmac_f32_e32 v39, v40, v37
	v_fma_f32 v36, -v36, v39, v38
	s_delay_alu instid0(VALU_DEP_1) | instskip(NEXT) | instid1(VALU_DEP_1)
	v_div_fmas_f32 v36, v36, v37, v39
	v_div_fixup_f32 v35, v36, v35, 1.0
.LBB8_25:
	s_or_b32 exec_lo, exec_lo, s2
	s_delay_alu instid0(SALU_CYCLE_1)
	s_mov_b32 s2, exec_lo
	v_cmpx_o_f16_e32 v18, v18
	s_cbranch_execz .LBB8_27
; %bb.26:
	v_cvt_f32_f16_e64 v17, -v18
	s_mov_b32 s3, 0x3fb8aa3b
	s_delay_alu instid0(VALU_DEP_1) | instskip(SKIP_1) | instid1(VALU_DEP_2)
	v_mul_f32_e32 v36, 0x3fb8aa3b, v17
	v_cmp_ngt_f32_e32 vcc_lo, 0xc2ce8ed0, v17
	v_rndne_f32_e32 v37, v36
	v_fma_mix_f32 v38, -v18, s3, -v36 op_sel_hi:[1,0,0]
	s_mov_b32 s3, 0x32a5705f
	s_delay_alu instid0(VALU_DEP_2) | instskip(NEXT) | instid1(VALU_DEP_2)
	v_sub_f32_e32 v36, v36, v37
	v_fma_mix_f32 v38, -v18, s3, v38 op_sel_hi:[1,0,0]
	v_cvt_i32_f32_e32 v37, v37
	s_delay_alu instid0(VALU_DEP_2) | instskip(NEXT) | instid1(VALU_DEP_1)
	v_add_f32_e32 v36, v36, v38
	v_exp_f32_e32 v36, v36
	s_waitcnt_depctr 0xfff
	v_ldexp_f32 v36, v36, v37
	s_delay_alu instid0(VALU_DEP_1) | instskip(SKIP_1) | instid1(VALU_DEP_2)
	v_cndmask_b32_e32 v36, 0, v36, vcc_lo
	v_cmp_nlt_f32_e32 vcc_lo, 0x42b17218, v17
	v_cndmask_b32_e32 v17, 0x7f800000, v36, vcc_lo
	s_delay_alu instid0(VALU_DEP_1) | instskip(NEXT) | instid1(VALU_DEP_1)
	v_add_f32_e32 v17, 1.0, v17
	v_div_scale_f32 v36, null, v17, v17, 1.0
	s_delay_alu instid0(VALU_DEP_1) | instskip(SKIP_2) | instid1(VALU_DEP_1)
	v_rcp_f32_e32 v37, v36
	s_waitcnt_depctr 0xfff
	v_fma_f32 v38, -v36, v37, 1.0
	v_fmac_f32_e32 v37, v38, v37
	v_div_scale_f32 v38, vcc_lo, 1.0, v17, 1.0
	s_delay_alu instid0(VALU_DEP_1) | instskip(NEXT) | instid1(VALU_DEP_1)
	v_mul_f32_e32 v39, v38, v37
	v_fma_f32 v40, -v36, v39, v38
	s_delay_alu instid0(VALU_DEP_1) | instskip(NEXT) | instid1(VALU_DEP_1)
	v_fmac_f32_e32 v39, v40, v37
	v_fma_f32 v36, -v36, v39, v38
	s_delay_alu instid0(VALU_DEP_1) | instskip(NEXT) | instid1(VALU_DEP_1)
	v_div_fmas_f32 v36, v36, v37, v39
	v_div_fixup_f32 v17, v36, v17, 1.0
.LBB8_27:
	s_or_b32 exec_lo, exec_lo, s2
	v_lshrrev_b32_e32 v37, 16, v18
	v_mov_b32_e32 v18, 0
	v_mov_b32_e32 v36, 0
	s_mov_b32 s2, exec_lo
	s_delay_alu instid0(VALU_DEP_3)
	v_cmpx_o_f16_e32 v37, v37
	s_cbranch_execz .LBB8_29
; %bb.28:
	v_cvt_f32_f16_e64 v36, -v37
	s_mov_b32 s3, 0x3fb8aa3b
	s_delay_alu instid0(VALU_DEP_1) | instskip(SKIP_1) | instid1(VALU_DEP_1)
	v_cmp_ngt_f32_e32 vcc_lo, 0xc2ce8ed0, v36
	v_mul_f32_e32 v38, 0x3fb8aa3b, v36
	v_rndne_f32_e32 v39, v38
	v_fma_mix_f32 v40, -v37, s3, -v38 op_sel_hi:[1,0,0]
	s_mov_b32 s3, 0x32a5705f
	s_delay_alu instid0(VALU_DEP_2) | instskip(NEXT) | instid1(VALU_DEP_2)
	v_sub_f32_e32 v38, v38, v39
	v_fma_mix_f32 v37, -v37, s3, v40 op_sel_hi:[1,0,0]
	s_delay_alu instid0(VALU_DEP_1) | instskip(SKIP_1) | instid1(VALU_DEP_2)
	v_add_f32_e32 v37, v38, v37
	v_cvt_i32_f32_e32 v38, v39
	v_exp_f32_e32 v37, v37
	s_waitcnt_depctr 0xfff
	v_ldexp_f32 v37, v37, v38
	s_delay_alu instid0(VALU_DEP_1) | instskip(SKIP_1) | instid1(VALU_DEP_2)
	v_cndmask_b32_e32 v37, 0, v37, vcc_lo
	v_cmp_nlt_f32_e32 vcc_lo, 0x42b17218, v36
	v_cndmask_b32_e32 v36, 0x7f800000, v37, vcc_lo
	s_delay_alu instid0(VALU_DEP_1) | instskip(NEXT) | instid1(VALU_DEP_1)
	v_add_f32_e32 v36, 1.0, v36
	v_div_scale_f32 v37, null, v36, v36, 1.0
	s_delay_alu instid0(VALU_DEP_1) | instskip(SKIP_2) | instid1(VALU_DEP_1)
	v_rcp_f32_e32 v38, v37
	s_waitcnt_depctr 0xfff
	v_fma_f32 v39, -v37, v38, 1.0
	v_fmac_f32_e32 v38, v39, v38
	v_div_scale_f32 v39, vcc_lo, 1.0, v36, 1.0
	s_delay_alu instid0(VALU_DEP_1) | instskip(NEXT) | instid1(VALU_DEP_1)
	v_mul_f32_e32 v40, v39, v38
	v_fma_f32 v41, -v37, v40, v39
	s_delay_alu instid0(VALU_DEP_1) | instskip(NEXT) | instid1(VALU_DEP_1)
	v_fmac_f32_e32 v40, v41, v38
	v_fma_f32 v37, -v37, v40, v39
	s_delay_alu instid0(VALU_DEP_1) | instskip(NEXT) | instid1(VALU_DEP_1)
	v_div_fmas_f32 v37, v37, v38, v40
	v_div_fixup_f32 v36, v37, v36, 1.0
.LBB8_29:
	s_or_b32 exec_lo, exec_lo, s2
	s_delay_alu instid0(SALU_CYCLE_1)
	s_mov_b32 s2, exec_lo
	v_cmpx_o_f16_e32 v19, v19
	s_cbranch_execz .LBB8_31
; %bb.30:
	v_cvt_f32_f16_e64 v18, -v19
	s_mov_b32 s3, 0x3fb8aa3b
	s_delay_alu instid0(VALU_DEP_1) | instskip(SKIP_1) | instid1(VALU_DEP_2)
	v_mul_f32_e32 v37, 0x3fb8aa3b, v18
	v_cmp_ngt_f32_e32 vcc_lo, 0xc2ce8ed0, v18
	v_rndne_f32_e32 v38, v37
	v_fma_mix_f32 v39, -v19, s3, -v37 op_sel_hi:[1,0,0]
	s_mov_b32 s3, 0x32a5705f
	s_delay_alu instid0(VALU_DEP_2) | instskip(NEXT) | instid1(VALU_DEP_2)
	v_sub_f32_e32 v37, v37, v38
	v_fma_mix_f32 v39, -v19, s3, v39 op_sel_hi:[1,0,0]
	v_cvt_i32_f32_e32 v38, v38
	s_delay_alu instid0(VALU_DEP_2) | instskip(NEXT) | instid1(VALU_DEP_1)
	v_add_f32_e32 v37, v37, v39
	v_exp_f32_e32 v37, v37
	s_waitcnt_depctr 0xfff
	v_ldexp_f32 v37, v37, v38
	s_delay_alu instid0(VALU_DEP_1) | instskip(SKIP_1) | instid1(VALU_DEP_2)
	v_cndmask_b32_e32 v37, 0, v37, vcc_lo
	v_cmp_nlt_f32_e32 vcc_lo, 0x42b17218, v18
	v_cndmask_b32_e32 v18, 0x7f800000, v37, vcc_lo
	s_delay_alu instid0(VALU_DEP_1) | instskip(NEXT) | instid1(VALU_DEP_1)
	v_add_f32_e32 v18, 1.0, v18
	v_div_scale_f32 v37, null, v18, v18, 1.0
	s_delay_alu instid0(VALU_DEP_1) | instskip(SKIP_2) | instid1(VALU_DEP_1)
	v_rcp_f32_e32 v38, v37
	s_waitcnt_depctr 0xfff
	v_fma_f32 v39, -v37, v38, 1.0
	v_fmac_f32_e32 v38, v39, v38
	v_div_scale_f32 v39, vcc_lo, 1.0, v18, 1.0
	s_delay_alu instid0(VALU_DEP_1) | instskip(NEXT) | instid1(VALU_DEP_1)
	v_mul_f32_e32 v40, v39, v38
	v_fma_f32 v41, -v37, v40, v39
	s_delay_alu instid0(VALU_DEP_1) | instskip(NEXT) | instid1(VALU_DEP_1)
	v_fmac_f32_e32 v40, v41, v38
	v_fma_f32 v37, -v37, v40, v39
	s_delay_alu instid0(VALU_DEP_1) | instskip(NEXT) | instid1(VALU_DEP_1)
	v_div_fmas_f32 v37, v37, v38, v40
	v_div_fixup_f32 v18, v37, v18, 1.0
.LBB8_31:
	s_or_b32 exec_lo, exec_lo, s2
	v_lshrrev_b32_e32 v38, 16, v19
	v_mov_b32_e32 v19, 0
	v_mov_b32_e32 v37, 0
	s_mov_b32 s2, exec_lo
	s_delay_alu instid0(VALU_DEP_3)
	v_cmpx_o_f16_e32 v38, v38
	s_cbranch_execz .LBB8_33
; %bb.32:
	v_cvt_f32_f16_e64 v37, -v38
	s_mov_b32 s3, 0x3fb8aa3b
	s_delay_alu instid0(VALU_DEP_1) | instskip(SKIP_1) | instid1(VALU_DEP_1)
	v_cmp_ngt_f32_e32 vcc_lo, 0xc2ce8ed0, v37
	v_mul_f32_e32 v39, 0x3fb8aa3b, v37
	v_rndne_f32_e32 v40, v39
	v_fma_mix_f32 v41, -v38, s3, -v39 op_sel_hi:[1,0,0]
	s_mov_b32 s3, 0x32a5705f
	s_delay_alu instid0(VALU_DEP_2) | instskip(NEXT) | instid1(VALU_DEP_2)
	v_sub_f32_e32 v39, v39, v40
	v_fma_mix_f32 v38, -v38, s3, v41 op_sel_hi:[1,0,0]
	s_delay_alu instid0(VALU_DEP_1) | instskip(SKIP_1) | instid1(VALU_DEP_2)
	v_add_f32_e32 v38, v39, v38
	v_cvt_i32_f32_e32 v39, v40
	v_exp_f32_e32 v38, v38
	s_waitcnt_depctr 0xfff
	v_ldexp_f32 v38, v38, v39
	s_delay_alu instid0(VALU_DEP_1) | instskip(SKIP_1) | instid1(VALU_DEP_2)
	v_cndmask_b32_e32 v38, 0, v38, vcc_lo
	v_cmp_nlt_f32_e32 vcc_lo, 0x42b17218, v37
	v_cndmask_b32_e32 v37, 0x7f800000, v38, vcc_lo
	s_delay_alu instid0(VALU_DEP_1) | instskip(NEXT) | instid1(VALU_DEP_1)
	v_add_f32_e32 v37, 1.0, v37
	v_div_scale_f32 v38, null, v37, v37, 1.0
	s_delay_alu instid0(VALU_DEP_1) | instskip(SKIP_2) | instid1(VALU_DEP_1)
	v_rcp_f32_e32 v39, v38
	s_waitcnt_depctr 0xfff
	v_fma_f32 v40, -v38, v39, 1.0
	v_fmac_f32_e32 v39, v40, v39
	v_div_scale_f32 v40, vcc_lo, 1.0, v37, 1.0
	s_delay_alu instid0(VALU_DEP_1) | instskip(NEXT) | instid1(VALU_DEP_1)
	v_mul_f32_e32 v41, v40, v39
	v_fma_f32 v42, -v38, v41, v40
	s_delay_alu instid0(VALU_DEP_1) | instskip(NEXT) | instid1(VALU_DEP_1)
	v_fmac_f32_e32 v41, v42, v39
	v_fma_f32 v38, -v38, v41, v40
	s_delay_alu instid0(VALU_DEP_1) | instskip(NEXT) | instid1(VALU_DEP_1)
	v_div_fmas_f32 v38, v38, v39, v41
	v_div_fixup_f32 v37, v38, v37, 1.0
.LBB8_33:
	s_or_b32 exec_lo, exec_lo, s2
	s_delay_alu instid0(SALU_CYCLE_1)
	s_mov_b32 s2, exec_lo
	s_waitcnt vmcnt(3)
	v_cmpx_o_f16_e32 v12, v12
	s_cbranch_execz .LBB8_35
; %bb.34:
	v_cvt_f32_f16_e64 v19, -v12
	s_mov_b32 s3, 0x3fb8aa3b
	s_delay_alu instid0(VALU_DEP_1) | instskip(SKIP_1) | instid1(VALU_DEP_2)
	v_mul_f32_e32 v38, 0x3fb8aa3b, v19
	v_cmp_ngt_f32_e32 vcc_lo, 0xc2ce8ed0, v19
	v_rndne_f32_e32 v39, v38
	v_fma_mix_f32 v40, -v12, s3, -v38 op_sel_hi:[1,0,0]
	s_mov_b32 s3, 0x32a5705f
	s_delay_alu instid0(VALU_DEP_2) | instskip(NEXT) | instid1(VALU_DEP_2)
	v_sub_f32_e32 v38, v38, v39
	v_fma_mix_f32 v40, -v12, s3, v40 op_sel_hi:[1,0,0]
	v_cvt_i32_f32_e32 v39, v39
	s_delay_alu instid0(VALU_DEP_2) | instskip(NEXT) | instid1(VALU_DEP_1)
	v_add_f32_e32 v38, v38, v40
	v_exp_f32_e32 v38, v38
	s_waitcnt_depctr 0xfff
	v_ldexp_f32 v38, v38, v39
	s_delay_alu instid0(VALU_DEP_1) | instskip(SKIP_1) | instid1(VALU_DEP_2)
	v_cndmask_b32_e32 v38, 0, v38, vcc_lo
	v_cmp_nlt_f32_e32 vcc_lo, 0x42b17218, v19
	v_cndmask_b32_e32 v19, 0x7f800000, v38, vcc_lo
	s_delay_alu instid0(VALU_DEP_1) | instskip(NEXT) | instid1(VALU_DEP_1)
	v_add_f32_e32 v19, 1.0, v19
	v_div_scale_f32 v38, null, v19, v19, 1.0
	s_delay_alu instid0(VALU_DEP_1) | instskip(SKIP_2) | instid1(VALU_DEP_1)
	v_rcp_f32_e32 v39, v38
	s_waitcnt_depctr 0xfff
	v_fma_f32 v40, -v38, v39, 1.0
	v_fmac_f32_e32 v39, v40, v39
	v_div_scale_f32 v40, vcc_lo, 1.0, v19, 1.0
	s_delay_alu instid0(VALU_DEP_1) | instskip(NEXT) | instid1(VALU_DEP_1)
	v_mul_f32_e32 v41, v40, v39
	v_fma_f32 v42, -v38, v41, v40
	s_delay_alu instid0(VALU_DEP_1) | instskip(NEXT) | instid1(VALU_DEP_1)
	v_fmac_f32_e32 v41, v42, v39
	v_fma_f32 v38, -v38, v41, v40
	s_delay_alu instid0(VALU_DEP_1) | instskip(NEXT) | instid1(VALU_DEP_1)
	v_div_fmas_f32 v38, v38, v39, v41
	v_div_fixup_f32 v19, v38, v19, 1.0
.LBB8_35:
	s_or_b32 exec_lo, exec_lo, s2
	v_lshrrev_b32_e32 v39, 16, v12
	v_mov_b32_e32 v12, 0
	v_mov_b32_e32 v38, 0
	s_mov_b32 s2, exec_lo
	s_delay_alu instid0(VALU_DEP_3)
	v_cmpx_o_f16_e32 v39, v39
	s_cbranch_execz .LBB8_37
; %bb.36:
	v_cvt_f32_f16_e64 v38, -v39
	s_mov_b32 s3, 0x3fb8aa3b
	s_delay_alu instid0(VALU_DEP_1) | instskip(SKIP_1) | instid1(VALU_DEP_1)
	v_cmp_ngt_f32_e32 vcc_lo, 0xc2ce8ed0, v38
	v_mul_f32_e32 v40, 0x3fb8aa3b, v38
	v_rndne_f32_e32 v41, v40
	v_fma_mix_f32 v42, -v39, s3, -v40 op_sel_hi:[1,0,0]
	s_mov_b32 s3, 0x32a5705f
	s_delay_alu instid0(VALU_DEP_2) | instskip(NEXT) | instid1(VALU_DEP_2)
	v_sub_f32_e32 v40, v40, v41
	v_fma_mix_f32 v39, -v39, s3, v42 op_sel_hi:[1,0,0]
	s_delay_alu instid0(VALU_DEP_1) | instskip(SKIP_1) | instid1(VALU_DEP_2)
	v_add_f32_e32 v39, v40, v39
	v_cvt_i32_f32_e32 v40, v41
	v_exp_f32_e32 v39, v39
	s_waitcnt_depctr 0xfff
	v_ldexp_f32 v39, v39, v40
	s_delay_alu instid0(VALU_DEP_1) | instskip(SKIP_1) | instid1(VALU_DEP_2)
	v_cndmask_b32_e32 v39, 0, v39, vcc_lo
	v_cmp_nlt_f32_e32 vcc_lo, 0x42b17218, v38
	v_cndmask_b32_e32 v38, 0x7f800000, v39, vcc_lo
	s_delay_alu instid0(VALU_DEP_1) | instskip(NEXT) | instid1(VALU_DEP_1)
	v_add_f32_e32 v38, 1.0, v38
	v_div_scale_f32 v39, null, v38, v38, 1.0
	s_delay_alu instid0(VALU_DEP_1) | instskip(SKIP_2) | instid1(VALU_DEP_1)
	v_rcp_f32_e32 v40, v39
	s_waitcnt_depctr 0xfff
	v_fma_f32 v41, -v39, v40, 1.0
	v_fmac_f32_e32 v40, v41, v40
	v_div_scale_f32 v41, vcc_lo, 1.0, v38, 1.0
	s_delay_alu instid0(VALU_DEP_1) | instskip(NEXT) | instid1(VALU_DEP_1)
	v_mul_f32_e32 v42, v41, v40
	v_fma_f32 v43, -v39, v42, v41
	s_delay_alu instid0(VALU_DEP_1) | instskip(NEXT) | instid1(VALU_DEP_1)
	v_fmac_f32_e32 v42, v43, v40
	v_fma_f32 v39, -v39, v42, v41
	s_delay_alu instid0(VALU_DEP_1) | instskip(NEXT) | instid1(VALU_DEP_1)
	v_div_fmas_f32 v39, v39, v40, v42
	v_div_fixup_f32 v38, v39, v38, 1.0
.LBB8_37:
	s_or_b32 exec_lo, exec_lo, s2
	s_delay_alu instid0(SALU_CYCLE_1)
	s_mov_b32 s2, exec_lo
	v_cmpx_o_f16_e32 v13, v13
	s_cbranch_execz .LBB8_39
; %bb.38:
	v_cvt_f32_f16_e64 v12, -v13
	s_mov_b32 s3, 0x3fb8aa3b
	s_delay_alu instid0(VALU_DEP_1) | instskip(SKIP_1) | instid1(VALU_DEP_2)
	v_mul_f32_e32 v39, 0x3fb8aa3b, v12
	v_cmp_ngt_f32_e32 vcc_lo, 0xc2ce8ed0, v12
	v_rndne_f32_e32 v40, v39
	v_fma_mix_f32 v41, -v13, s3, -v39 op_sel_hi:[1,0,0]
	s_mov_b32 s3, 0x32a5705f
	s_delay_alu instid0(VALU_DEP_2) | instskip(NEXT) | instid1(VALU_DEP_2)
	v_sub_f32_e32 v39, v39, v40
	v_fma_mix_f32 v41, -v13, s3, v41 op_sel_hi:[1,0,0]
	v_cvt_i32_f32_e32 v40, v40
	s_delay_alu instid0(VALU_DEP_2) | instskip(NEXT) | instid1(VALU_DEP_1)
	v_add_f32_e32 v39, v39, v41
	v_exp_f32_e32 v39, v39
	s_waitcnt_depctr 0xfff
	v_ldexp_f32 v39, v39, v40
	s_delay_alu instid0(VALU_DEP_1) | instskip(SKIP_1) | instid1(VALU_DEP_2)
	v_cndmask_b32_e32 v39, 0, v39, vcc_lo
	v_cmp_nlt_f32_e32 vcc_lo, 0x42b17218, v12
	v_cndmask_b32_e32 v12, 0x7f800000, v39, vcc_lo
	s_delay_alu instid0(VALU_DEP_1) | instskip(NEXT) | instid1(VALU_DEP_1)
	v_add_f32_e32 v12, 1.0, v12
	v_div_scale_f32 v39, null, v12, v12, 1.0
	s_delay_alu instid0(VALU_DEP_1) | instskip(SKIP_2) | instid1(VALU_DEP_1)
	v_rcp_f32_e32 v40, v39
	s_waitcnt_depctr 0xfff
	v_fma_f32 v41, -v39, v40, 1.0
	v_fmac_f32_e32 v40, v41, v40
	v_div_scale_f32 v41, vcc_lo, 1.0, v12, 1.0
	s_delay_alu instid0(VALU_DEP_1) | instskip(NEXT) | instid1(VALU_DEP_1)
	v_mul_f32_e32 v42, v41, v40
	v_fma_f32 v43, -v39, v42, v41
	s_delay_alu instid0(VALU_DEP_1) | instskip(NEXT) | instid1(VALU_DEP_1)
	v_fmac_f32_e32 v42, v43, v40
	v_fma_f32 v39, -v39, v42, v41
	s_delay_alu instid0(VALU_DEP_1) | instskip(NEXT) | instid1(VALU_DEP_1)
	v_div_fmas_f32 v39, v39, v40, v42
	v_div_fixup_f32 v12, v39, v12, 1.0
.LBB8_39:
	s_or_b32 exec_lo, exec_lo, s2
	v_lshrrev_b32_e32 v40, 16, v13
	v_mov_b32_e32 v13, 0
	v_mov_b32_e32 v39, 0
	s_mov_b32 s2, exec_lo
	s_delay_alu instid0(VALU_DEP_3)
	v_cmpx_o_f16_e32 v40, v40
	s_cbranch_execz .LBB8_41
; %bb.40:
	v_cvt_f32_f16_e64 v39, -v40
	s_mov_b32 s3, 0x3fb8aa3b
	s_delay_alu instid0(VALU_DEP_1) | instskip(SKIP_1) | instid1(VALU_DEP_1)
	v_cmp_ngt_f32_e32 vcc_lo, 0xc2ce8ed0, v39
	v_mul_f32_e32 v41, 0x3fb8aa3b, v39
	v_rndne_f32_e32 v42, v41
	v_fma_mix_f32 v43, -v40, s3, -v41 op_sel_hi:[1,0,0]
	s_mov_b32 s3, 0x32a5705f
	s_delay_alu instid0(VALU_DEP_2) | instskip(NEXT) | instid1(VALU_DEP_2)
	v_sub_f32_e32 v41, v41, v42
	v_fma_mix_f32 v40, -v40, s3, v43 op_sel_hi:[1,0,0]
	s_delay_alu instid0(VALU_DEP_1) | instskip(SKIP_1) | instid1(VALU_DEP_2)
	v_add_f32_e32 v40, v41, v40
	v_cvt_i32_f32_e32 v41, v42
	v_exp_f32_e32 v40, v40
	s_waitcnt_depctr 0xfff
	v_ldexp_f32 v40, v40, v41
	s_delay_alu instid0(VALU_DEP_1) | instskip(SKIP_1) | instid1(VALU_DEP_2)
	v_cndmask_b32_e32 v40, 0, v40, vcc_lo
	v_cmp_nlt_f32_e32 vcc_lo, 0x42b17218, v39
	v_cndmask_b32_e32 v39, 0x7f800000, v40, vcc_lo
	s_delay_alu instid0(VALU_DEP_1) | instskip(NEXT) | instid1(VALU_DEP_1)
	v_add_f32_e32 v39, 1.0, v39
	v_div_scale_f32 v40, null, v39, v39, 1.0
	s_delay_alu instid0(VALU_DEP_1) | instskip(SKIP_2) | instid1(VALU_DEP_1)
	v_rcp_f32_e32 v41, v40
	s_waitcnt_depctr 0xfff
	v_fma_f32 v42, -v40, v41, 1.0
	v_fmac_f32_e32 v41, v42, v41
	v_div_scale_f32 v42, vcc_lo, 1.0, v39, 1.0
	s_delay_alu instid0(VALU_DEP_1) | instskip(NEXT) | instid1(VALU_DEP_1)
	v_mul_f32_e32 v43, v42, v41
	v_fma_f32 v44, -v40, v43, v42
	s_delay_alu instid0(VALU_DEP_1) | instskip(NEXT) | instid1(VALU_DEP_1)
	v_fmac_f32_e32 v43, v44, v41
	v_fma_f32 v40, -v40, v43, v42
	s_delay_alu instid0(VALU_DEP_1) | instskip(NEXT) | instid1(VALU_DEP_1)
	v_div_fmas_f32 v40, v40, v41, v43
	v_div_fixup_f32 v39, v40, v39, 1.0
.LBB8_41:
	s_or_b32 exec_lo, exec_lo, s2
	s_delay_alu instid0(SALU_CYCLE_1)
	s_mov_b32 s2, exec_lo
	v_cmpx_o_f16_e32 v14, v14
	s_cbranch_execz .LBB8_43
; %bb.42:
	v_cvt_f32_f16_e64 v13, -v14
	s_mov_b32 s3, 0x3fb8aa3b
	s_delay_alu instid0(VALU_DEP_1) | instskip(SKIP_1) | instid1(VALU_DEP_2)
	v_mul_f32_e32 v40, 0x3fb8aa3b, v13
	v_cmp_ngt_f32_e32 vcc_lo, 0xc2ce8ed0, v13
	v_rndne_f32_e32 v41, v40
	v_fma_mix_f32 v42, -v14, s3, -v40 op_sel_hi:[1,0,0]
	s_mov_b32 s3, 0x32a5705f
	s_delay_alu instid0(VALU_DEP_2) | instskip(NEXT) | instid1(VALU_DEP_2)
	v_sub_f32_e32 v40, v40, v41
	v_fma_mix_f32 v42, -v14, s3, v42 op_sel_hi:[1,0,0]
	v_cvt_i32_f32_e32 v41, v41
	s_delay_alu instid0(VALU_DEP_2) | instskip(NEXT) | instid1(VALU_DEP_1)
	v_add_f32_e32 v40, v40, v42
	v_exp_f32_e32 v40, v40
	s_waitcnt_depctr 0xfff
	v_ldexp_f32 v40, v40, v41
	s_delay_alu instid0(VALU_DEP_1) | instskip(SKIP_1) | instid1(VALU_DEP_2)
	v_cndmask_b32_e32 v40, 0, v40, vcc_lo
	v_cmp_nlt_f32_e32 vcc_lo, 0x42b17218, v13
	v_cndmask_b32_e32 v13, 0x7f800000, v40, vcc_lo
	s_delay_alu instid0(VALU_DEP_1) | instskip(NEXT) | instid1(VALU_DEP_1)
	v_add_f32_e32 v13, 1.0, v13
	v_div_scale_f32 v40, null, v13, v13, 1.0
	s_delay_alu instid0(VALU_DEP_1) | instskip(SKIP_2) | instid1(VALU_DEP_1)
	v_rcp_f32_e32 v41, v40
	s_waitcnt_depctr 0xfff
	v_fma_f32 v42, -v40, v41, 1.0
	v_fmac_f32_e32 v41, v42, v41
	v_div_scale_f32 v42, vcc_lo, 1.0, v13, 1.0
	s_delay_alu instid0(VALU_DEP_1) | instskip(NEXT) | instid1(VALU_DEP_1)
	v_mul_f32_e32 v43, v42, v41
	v_fma_f32 v44, -v40, v43, v42
	s_delay_alu instid0(VALU_DEP_1) | instskip(NEXT) | instid1(VALU_DEP_1)
	v_fmac_f32_e32 v43, v44, v41
	v_fma_f32 v40, -v40, v43, v42
	s_delay_alu instid0(VALU_DEP_1) | instskip(NEXT) | instid1(VALU_DEP_1)
	v_div_fmas_f32 v40, v40, v41, v43
	v_div_fixup_f32 v13, v40, v13, 1.0
.LBB8_43:
	s_or_b32 exec_lo, exec_lo, s2
	v_lshrrev_b32_e32 v41, 16, v14
	v_mov_b32_e32 v14, 0
	v_mov_b32_e32 v40, 0
	s_mov_b32 s2, exec_lo
	s_delay_alu instid0(VALU_DEP_3)
	v_cmpx_o_f16_e32 v41, v41
	s_cbranch_execz .LBB8_45
; %bb.44:
	v_cvt_f32_f16_e64 v40, -v41
	s_mov_b32 s3, 0x3fb8aa3b
	s_delay_alu instid0(VALU_DEP_1) | instskip(SKIP_1) | instid1(VALU_DEP_1)
	v_cmp_ngt_f32_e32 vcc_lo, 0xc2ce8ed0, v40
	v_mul_f32_e32 v42, 0x3fb8aa3b, v40
	v_rndne_f32_e32 v43, v42
	v_fma_mix_f32 v44, -v41, s3, -v42 op_sel_hi:[1,0,0]
	s_mov_b32 s3, 0x32a5705f
	s_delay_alu instid0(VALU_DEP_2) | instskip(NEXT) | instid1(VALU_DEP_2)
	v_sub_f32_e32 v42, v42, v43
	v_fma_mix_f32 v41, -v41, s3, v44 op_sel_hi:[1,0,0]
	s_delay_alu instid0(VALU_DEP_1) | instskip(SKIP_1) | instid1(VALU_DEP_2)
	v_add_f32_e32 v41, v42, v41
	v_cvt_i32_f32_e32 v42, v43
	v_exp_f32_e32 v41, v41
	s_waitcnt_depctr 0xfff
	v_ldexp_f32 v41, v41, v42
	s_delay_alu instid0(VALU_DEP_1) | instskip(SKIP_1) | instid1(VALU_DEP_2)
	v_cndmask_b32_e32 v41, 0, v41, vcc_lo
	v_cmp_nlt_f32_e32 vcc_lo, 0x42b17218, v40
	v_cndmask_b32_e32 v40, 0x7f800000, v41, vcc_lo
	s_delay_alu instid0(VALU_DEP_1) | instskip(NEXT) | instid1(VALU_DEP_1)
	v_add_f32_e32 v40, 1.0, v40
	v_div_scale_f32 v41, null, v40, v40, 1.0
	s_delay_alu instid0(VALU_DEP_1) | instskip(SKIP_2) | instid1(VALU_DEP_1)
	v_rcp_f32_e32 v42, v41
	s_waitcnt_depctr 0xfff
	v_fma_f32 v43, -v41, v42, 1.0
	v_fmac_f32_e32 v42, v43, v42
	v_div_scale_f32 v43, vcc_lo, 1.0, v40, 1.0
	s_delay_alu instid0(VALU_DEP_1) | instskip(NEXT) | instid1(VALU_DEP_1)
	v_mul_f32_e32 v44, v43, v42
	v_fma_f32 v45, -v41, v44, v43
	s_delay_alu instid0(VALU_DEP_1) | instskip(NEXT) | instid1(VALU_DEP_1)
	v_fmac_f32_e32 v44, v45, v42
	v_fma_f32 v41, -v41, v44, v43
	s_delay_alu instid0(VALU_DEP_1) | instskip(NEXT) | instid1(VALU_DEP_1)
	v_div_fmas_f32 v41, v41, v42, v44
	v_div_fixup_f32 v40, v41, v40, 1.0
.LBB8_45:
	s_or_b32 exec_lo, exec_lo, s2
	s_delay_alu instid0(SALU_CYCLE_1)
	s_mov_b32 s2, exec_lo
	v_cmpx_o_f16_e32 v15, v15
	s_cbranch_execz .LBB8_47
; %bb.46:
	v_cvt_f32_f16_e64 v14, -v15
	s_mov_b32 s3, 0x3fb8aa3b
	s_delay_alu instid0(VALU_DEP_1) | instskip(SKIP_1) | instid1(VALU_DEP_2)
	v_mul_f32_e32 v41, 0x3fb8aa3b, v14
	v_cmp_ngt_f32_e32 vcc_lo, 0xc2ce8ed0, v14
	v_rndne_f32_e32 v42, v41
	v_fma_mix_f32 v43, -v15, s3, -v41 op_sel_hi:[1,0,0]
	s_mov_b32 s3, 0x32a5705f
	s_delay_alu instid0(VALU_DEP_2) | instskip(NEXT) | instid1(VALU_DEP_2)
	v_sub_f32_e32 v41, v41, v42
	v_fma_mix_f32 v43, -v15, s3, v43 op_sel_hi:[1,0,0]
	v_cvt_i32_f32_e32 v42, v42
	s_delay_alu instid0(VALU_DEP_2) | instskip(NEXT) | instid1(VALU_DEP_1)
	v_add_f32_e32 v41, v41, v43
	v_exp_f32_e32 v41, v41
	s_waitcnt_depctr 0xfff
	v_ldexp_f32 v41, v41, v42
	s_delay_alu instid0(VALU_DEP_1) | instskip(SKIP_1) | instid1(VALU_DEP_2)
	v_cndmask_b32_e32 v41, 0, v41, vcc_lo
	v_cmp_nlt_f32_e32 vcc_lo, 0x42b17218, v14
	v_cndmask_b32_e32 v14, 0x7f800000, v41, vcc_lo
	s_delay_alu instid0(VALU_DEP_1) | instskip(NEXT) | instid1(VALU_DEP_1)
	v_add_f32_e32 v14, 1.0, v14
	v_div_scale_f32 v41, null, v14, v14, 1.0
	s_delay_alu instid0(VALU_DEP_1) | instskip(SKIP_2) | instid1(VALU_DEP_1)
	v_rcp_f32_e32 v42, v41
	s_waitcnt_depctr 0xfff
	v_fma_f32 v43, -v41, v42, 1.0
	v_fmac_f32_e32 v42, v43, v42
	v_div_scale_f32 v43, vcc_lo, 1.0, v14, 1.0
	s_delay_alu instid0(VALU_DEP_1) | instskip(NEXT) | instid1(VALU_DEP_1)
	v_mul_f32_e32 v44, v43, v42
	v_fma_f32 v45, -v41, v44, v43
	s_delay_alu instid0(VALU_DEP_1) | instskip(NEXT) | instid1(VALU_DEP_1)
	v_fmac_f32_e32 v44, v45, v42
	v_fma_f32 v41, -v41, v44, v43
	s_delay_alu instid0(VALU_DEP_1) | instskip(NEXT) | instid1(VALU_DEP_1)
	v_div_fmas_f32 v41, v41, v42, v44
	v_div_fixup_f32 v14, v41, v14, 1.0
.LBB8_47:
	s_or_b32 exec_lo, exec_lo, s2
	v_lshrrev_b32_e32 v41, 16, v15
	v_mov_b32_e32 v15, 0
	s_mov_b32 s2, exec_lo
	s_delay_alu instid0(VALU_DEP_2)
	v_cmpx_o_f16_e32 v41, v41
	s_cbranch_execz .LBB8_49
; %bb.48:
	v_cvt_f32_f16_e64 v15, -v41
	s_mov_b32 s3, 0x3fb8aa3b
	s_delay_alu instid0(VALU_DEP_1) | instskip(SKIP_1) | instid1(VALU_DEP_1)
	v_cmp_ngt_f32_e32 vcc_lo, 0xc2ce8ed0, v15
	v_mul_f32_e32 v42, 0x3fb8aa3b, v15
	v_rndne_f32_e32 v43, v42
	v_fma_mix_f32 v44, -v41, s3, -v42 op_sel_hi:[1,0,0]
	s_mov_b32 s3, 0x32a5705f
	s_delay_alu instid0(VALU_DEP_2) | instskip(NEXT) | instid1(VALU_DEP_2)
	v_sub_f32_e32 v42, v42, v43
	v_fma_mix_f32 v41, -v41, s3, v44 op_sel_hi:[1,0,0]
	s_delay_alu instid0(VALU_DEP_1) | instskip(SKIP_1) | instid1(VALU_DEP_2)
	v_add_f32_e32 v41, v42, v41
	v_cvt_i32_f32_e32 v42, v43
	v_exp_f32_e32 v41, v41
	s_waitcnt_depctr 0xfff
	v_ldexp_f32 v41, v41, v42
	s_delay_alu instid0(VALU_DEP_1) | instskip(SKIP_1) | instid1(VALU_DEP_2)
	v_cndmask_b32_e32 v41, 0, v41, vcc_lo
	v_cmp_nlt_f32_e32 vcc_lo, 0x42b17218, v15
	v_cndmask_b32_e32 v15, 0x7f800000, v41, vcc_lo
	s_delay_alu instid0(VALU_DEP_1) | instskip(NEXT) | instid1(VALU_DEP_1)
	v_add_f32_e32 v15, 1.0, v15
	v_div_scale_f32 v41, null, v15, v15, 1.0
	s_delay_alu instid0(VALU_DEP_1) | instskip(SKIP_2) | instid1(VALU_DEP_1)
	v_rcp_f32_e32 v42, v41
	s_waitcnt_depctr 0xfff
	v_fma_f32 v43, -v41, v42, 1.0
	v_fmac_f32_e32 v42, v43, v42
	v_div_scale_f32 v43, vcc_lo, 1.0, v15, 1.0
	s_delay_alu instid0(VALU_DEP_1) | instskip(NEXT) | instid1(VALU_DEP_1)
	v_mul_f32_e32 v44, v43, v42
	v_fma_f32 v45, -v41, v44, v43
	s_delay_alu instid0(VALU_DEP_1) | instskip(NEXT) | instid1(VALU_DEP_1)
	v_fmac_f32_e32 v44, v45, v42
	v_fma_f32 v41, -v41, v44, v43
	s_delay_alu instid0(VALU_DEP_1) | instskip(NEXT) | instid1(VALU_DEP_1)
	v_div_fmas_f32 v41, v41, v42, v44
	v_div_fixup_f32 v15, v41, v15, 1.0
.LBB8_49:
	s_or_b32 exec_lo, exec_lo, s2
	s_waitcnt vmcnt(0)
	v_lshrrev_b32_e32 v41, 16, v8
	v_cvt_f32_f16_e32 v8, v8
	s_mov_b32 s2, exec_lo
	s_delay_alu instid0(VALU_DEP_2) | instskip(NEXT) | instid1(VALU_DEP_1)
	v_cvt_f32_f16_e32 v41, v41
	v_dual_add_f32 v8, v28, v8 :: v_dual_add_f32 v41, v29, v41
	s_delay_alu instid0(VALU_DEP_1) | instskip(NEXT) | instid1(VALU_DEP_1)
	v_max_f32_e32 v42, 0xff7fffff, v8
	v_dual_mov_b32 v46, v41 :: v_dual_mov_b32 v43, v42
	v_cmpx_ngt_f32_e32 v41, v42
	s_cbranch_execz .LBB8_53
; %bb.50:
	v_mov_b32_e32 v43, 0xff7fffff
	s_mov_b32 s3, exec_lo
	v_cmpx_lt_f32_e32 0xff7fffff, v41
; %bb.51:
	v_mov_b32_e32 v43, v41
; %bb.52:
	s_or_b32 exec_lo, exec_lo, s3
	v_mov_b32_e32 v46, v42
.LBB8_53:
	s_or_b32 exec_lo, exec_lo, s2
	v_cvt_f32_f16_e32 v42, v9
	s_delay_alu instid0(VALU_DEP_2) | instskip(SKIP_1) | instid1(VALU_DEP_2)
	v_mov_b32_e32 v44, v46
	s_mov_b32 s2, exec_lo
	v_add_f32_e32 v42, v20, v42
	s_delay_alu instid0(VALU_DEP_1)
	v_mov_b32_e32 v45, v42
	v_cmpx_ngt_f32_e32 v42, v46
	s_cbranch_execz .LBB8_57
; %bb.54:
	s_mov_b32 s3, exec_lo
	v_cmpx_gt_f32_e32 v42, v43
; %bb.55:
	v_mov_b32_e32 v43, v42
; %bb.56:
	s_or_b32 exec_lo, exec_lo, s3
	s_delay_alu instid0(VALU_DEP_1)
	v_dual_mov_b32 v44, v43 :: v_dual_mov_b32 v45, v46
.LBB8_57:
	s_or_b32 exec_lo, exec_lo, s2
	v_lshrrev_b32_e32 v9, 16, v9
	s_mov_b32 s2, exec_lo
	s_delay_alu instid0(VALU_DEP_2) | instskip(NEXT) | instid1(VALU_DEP_2)
	v_mov_b32_e32 v46, v45
	v_cvt_f32_f16_e32 v9, v9
	s_delay_alu instid0(VALU_DEP_1) | instskip(NEXT) | instid1(VALU_DEP_1)
	v_add_f32_e32 v9, v30, v9
	v_mov_b32_e32 v47, v9
	v_cmpx_ngt_f32_e32 v9, v45
	s_cbranch_execz .LBB8_61
; %bb.58:
	s_mov_b32 s3, exec_lo
	v_cmpx_gt_f32_e32 v9, v44
; %bb.59:
	v_mov_b32_e32 v44, v9
; %bb.60:
	s_or_b32 exec_lo, exec_lo, s3
	s_delay_alu instid0(VALU_DEP_1)
	v_dual_mov_b32 v46, v44 :: v_dual_mov_b32 v47, v45
.LBB8_61:
	s_or_b32 exec_lo, exec_lo, s2
	v_cvt_f32_f16_e32 v43, v10
	s_mov_b32 s2, exec_lo
	s_delay_alu instid0(VALU_DEP_1) | instskip(NEXT) | instid1(VALU_DEP_1)
	v_dual_mov_b32 v44, v47 :: v_dual_add_f32 v43, v21, v43
	v_mov_b32_e32 v45, v43
	v_cmpx_ngt_f32_e32 v43, v47
	s_cbranch_execz .LBB8_65
; %bb.62:
	s_mov_b32 s3, exec_lo
	v_cmpx_gt_f32_e32 v43, v46
; %bb.63:
	v_mov_b32_e32 v46, v43
; %bb.64:
	s_or_b32 exec_lo, exec_lo, s3
	s_delay_alu instid0(VALU_DEP_1)
	v_dual_mov_b32 v44, v46 :: v_dual_mov_b32 v45, v47
.LBB8_65:
	s_or_b32 exec_lo, exec_lo, s2
	v_lshrrev_b32_e32 v10, 16, v10
	s_mov_b32 s2, exec_lo
	s_delay_alu instid0(VALU_DEP_2) | instskip(NEXT) | instid1(VALU_DEP_2)
	v_mov_b32_e32 v47, v45
	v_cvt_f32_f16_e32 v10, v10
	s_delay_alu instid0(VALU_DEP_1) | instskip(NEXT) | instid1(VALU_DEP_1)
	v_add_f32_e32 v10, v31, v10
	v_mov_b32_e32 v48, v10
	v_cmpx_ngt_f32_e32 v10, v45
	s_cbranch_execz .LBB8_69
; %bb.66:
	s_mov_b32 s3, exec_lo
	v_cmpx_gt_f32_e32 v10, v44
; %bb.67:
	v_mov_b32_e32 v44, v10
; %bb.68:
	s_or_b32 exec_lo, exec_lo, s3
	s_delay_alu instid0(VALU_DEP_1)
	v_dual_mov_b32 v47, v44 :: v_dual_mov_b32 v48, v45
.LBB8_69:
	s_or_b32 exec_lo, exec_lo, s2
	v_cvt_f32_f16_e32 v44, v11
	s_mov_b32 s2, exec_lo
	s_delay_alu instid0(VALU_DEP_1) | instskip(NEXT) | instid1(VALU_DEP_1)
	v_dual_mov_b32 v45, v48 :: v_dual_add_f32 v44, v22, v44
	v_mov_b32_e32 v46, v44
	v_cmpx_ngt_f32_e32 v44, v48
	s_cbranch_execz .LBB8_73
; %bb.70:
	s_mov_b32 s3, exec_lo
	v_cmpx_gt_f32_e32 v44, v47
; %bb.71:
	v_mov_b32_e32 v47, v44
; %bb.72:
	s_or_b32 exec_lo, exec_lo, s3
	s_delay_alu instid0(VALU_DEP_1)
	v_dual_mov_b32 v45, v47 :: v_dual_mov_b32 v46, v48
.LBB8_73:
	s_or_b32 exec_lo, exec_lo, s2
	v_lshrrev_b32_e32 v11, 16, v11
	s_mov_b32 s2, exec_lo
	s_delay_alu instid0(VALU_DEP_1) | instskip(NEXT) | instid1(VALU_DEP_1)
	v_cvt_f32_f16_e32 v11, v11
	v_add_f32_e32 v11, v32, v11
	s_delay_alu instid0(VALU_DEP_1)
	v_dual_mov_b32 v49, v46 :: v_dual_mov_b32 v50, v11
	v_cmpx_ngt_f32_e32 v11, v46
	s_cbranch_execz .LBB8_77
; %bb.74:
	s_mov_b32 s3, exec_lo
	v_cmpx_gt_f32_e32 v11, v45
; %bb.75:
	v_mov_b32_e32 v45, v11
; %bb.76:
	s_or_b32 exec_lo, exec_lo, s3
	s_delay_alu instid0(VALU_DEP_1)
	v_dual_mov_b32 v49, v45 :: v_dual_mov_b32 v50, v46
.LBB8_77:
	s_or_b32 exec_lo, exec_lo, s2
	v_cvt_f32_f16_e32 v45, v4
	s_mov_b32 s2, exec_lo
	s_delay_alu instid0(VALU_DEP_1) | instskip(NEXT) | instid1(VALU_DEP_1)
	v_add_f32_e32 v45, v23, v45
	v_dual_mov_b32 v47, v50 :: v_dual_mov_b32 v48, v45
	v_cmpx_ngt_f32_e32 v45, v50
	s_cbranch_execz .LBB8_81
; %bb.78:
	s_mov_b32 s3, exec_lo
	v_cmpx_gt_f32_e32 v45, v49
; %bb.79:
	v_mov_b32_e32 v49, v45
; %bb.80:
	s_or_b32 exec_lo, exec_lo, s3
	s_delay_alu instid0(VALU_DEP_1)
	v_dual_mov_b32 v47, v49 :: v_dual_mov_b32 v48, v50
.LBB8_81:
	s_or_b32 exec_lo, exec_lo, s2
	v_lshrrev_b32_e32 v4, 16, v4
	s_mov_b32 s2, exec_lo
	s_delay_alu instid0(VALU_DEP_1) | instskip(NEXT) | instid1(VALU_DEP_1)
	v_cvt_f32_f16_e32 v4, v4
	v_add_f32_e32 v46, v34, v4
	s_delay_alu instid0(VALU_DEP_1)
	v_dual_mov_b32 v50, v48 :: v_dual_mov_b32 v51, v46
	v_cmpx_ngt_f32_e32 v46, v48
	s_cbranch_execz .LBB8_85
; %bb.82:
	s_mov_b32 s3, exec_lo
	v_cmpx_gt_f32_e32 v46, v47
; %bb.83:
	v_mov_b32_e32 v47, v46
; %bb.84:
	s_or_b32 exec_lo, exec_lo, s3
	s_delay_alu instid0(VALU_DEP_1)
	v_dual_mov_b32 v50, v47 :: v_dual_mov_b32 v51, v48
.LBB8_85:
	s_or_b32 exec_lo, exec_lo, s2
	v_cvt_f32_f16_e32 v4, v5
	s_mov_b32 s2, exec_lo
	s_delay_alu instid0(VALU_DEP_1) | instskip(NEXT) | instid1(VALU_DEP_1)
	v_dual_add_f32 v47, v16, v4 :: v_dual_mov_b32 v4, v51
	v_mov_b32_e32 v49, v47
	v_cmpx_ngt_f32_e32 v47, v51
	s_cbranch_execz .LBB8_89
; %bb.86:
	s_mov_b32 s3, exec_lo
	v_cmpx_gt_f32_e32 v47, v50
; %bb.87:
	v_mov_b32_e32 v50, v47
; %bb.88:
	s_or_b32 exec_lo, exec_lo, s3
	s_delay_alu instid0(VALU_DEP_1)
	v_dual_mov_b32 v4, v50 :: v_dual_mov_b32 v49, v51
.LBB8_89:
	s_or_b32 exec_lo, exec_lo, s2
	v_lshrrev_b32_e32 v5, 16, v5
	s_mov_b32 s2, exec_lo
	s_delay_alu instid0(VALU_DEP_1) | instskip(NEXT) | instid1(VALU_DEP_1)
	v_cvt_f32_f16_e32 v5, v5
	v_add_f32_e32 v48, v35, v5
	s_delay_alu instid0(VALU_DEP_1)
	v_dual_mov_b32 v50, v49 :: v_dual_mov_b32 v51, v48
	v_cmpx_ngt_f32_e32 v48, v49
	s_cbranch_execz .LBB8_93
; %bb.90:
	s_mov_b32 s3, exec_lo
	v_cmpx_gt_f32_e32 v48, v4
; %bb.91:
	v_mov_b32_e32 v4, v48
; %bb.92:
	s_or_b32 exec_lo, exec_lo, s3
	s_delay_alu instid0(VALU_DEP_1)
	v_dual_mov_b32 v50, v4 :: v_dual_mov_b32 v51, v49
.LBB8_93:
	s_or_b32 exec_lo, exec_lo, s2
	v_cvt_f32_f16_e32 v4, v6
	s_mov_b32 s2, exec_lo
	s_delay_alu instid0(VALU_DEP_1) | instskip(NEXT) | instid1(VALU_DEP_1)
	v_dual_add_f32 v49, v17, v4 :: v_dual_mov_b32 v4, v51
	v_mov_b32_e32 v5, v49
	v_cmpx_ngt_f32_e32 v49, v51
	s_cbranch_execz .LBB8_97
; %bb.94:
	s_mov_b32 s3, exec_lo
	v_cmpx_gt_f32_e32 v49, v50
; %bb.95:
	v_mov_b32_e32 v50, v49
; %bb.96:
	s_or_b32 exec_lo, exec_lo, s3
	s_delay_alu instid0(VALU_DEP_1)
	v_dual_mov_b32 v4, v50 :: v_dual_mov_b32 v5, v51
.LBB8_97:
	s_or_b32 exec_lo, exec_lo, s2
	v_lshrrev_b32_e32 v6, 16, v6
	s_mov_b32 s2, exec_lo
	s_delay_alu instid0(VALU_DEP_2) | instskip(NEXT) | instid1(VALU_DEP_2)
	v_mov_b32_e32 v51, v5
	v_cvt_f32_f16_e32 v6, v6
	s_delay_alu instid0(VALU_DEP_1) | instskip(NEXT) | instid1(VALU_DEP_1)
	v_add_f32_e32 v6, v36, v6
	v_mov_b32_e32 v52, v6
	v_cmpx_ngt_f32_e32 v6, v5
	s_cbranch_execz .LBB8_101
; %bb.98:
	s_mov_b32 s3, exec_lo
	v_cmpx_gt_f32_e32 v6, v4
; %bb.99:
	v_mov_b32_e32 v4, v6
; %bb.100:
	s_or_b32 exec_lo, exec_lo, s3
	s_delay_alu instid0(VALU_DEP_1)
	v_dual_mov_b32 v51, v4 :: v_dual_mov_b32 v52, v5
.LBB8_101:
	s_or_b32 exec_lo, exec_lo, s2
	v_cvt_f32_f16_e32 v4, v7
	s_mov_b32 s2, exec_lo
	s_delay_alu instid0(VALU_DEP_1) | instskip(NEXT) | instid1(VALU_DEP_1)
	v_add_f32_e32 v50, v18, v4
	v_dual_mov_b32 v4, v52 :: v_dual_mov_b32 v5, v50
	v_cmpx_ngt_f32_e32 v50, v52
	s_cbranch_execz .LBB8_105
; %bb.102:
	s_mov_b32 s3, exec_lo
	v_cmpx_gt_f32_e32 v50, v51
; %bb.103:
	v_mov_b32_e32 v51, v50
; %bb.104:
	s_or_b32 exec_lo, exec_lo, s3
	s_delay_alu instid0(VALU_DEP_1)
	v_dual_mov_b32 v4, v51 :: v_dual_mov_b32 v5, v52
.LBB8_105:
	s_or_b32 exec_lo, exec_lo, s2
	v_lshrrev_b32_e32 v7, 16, v7
	s_mov_b32 s2, exec_lo
	s_delay_alu instid0(VALU_DEP_1) | instskip(NEXT) | instid1(VALU_DEP_1)
	v_cvt_f32_f16_e32 v7, v7
	v_add_f32_e32 v7, v37, v7
	s_delay_alu instid0(VALU_DEP_1)
	v_dual_mov_b32 v52, v5 :: v_dual_mov_b32 v53, v7
	v_cmpx_ngt_f32_e32 v7, v5
	s_cbranch_execz .LBB8_109
; %bb.106:
	s_mov_b32 s3, exec_lo
	v_cmpx_gt_f32_e32 v7, v4
; %bb.107:
	v_mov_b32_e32 v4, v7
; %bb.108:
	s_or_b32 exec_lo, exec_lo, s3
	s_delay_alu instid0(VALU_DEP_1)
	v_dual_mov_b32 v52, v4 :: v_dual_mov_b32 v53, v5
.LBB8_109:
	s_or_b32 exec_lo, exec_lo, s2
	v_cvt_f32_f16_e32 v4, v0
	s_mov_b32 s2, exec_lo
	s_delay_alu instid0(VALU_DEP_1) | instskip(NEXT) | instid1(VALU_DEP_1)
	v_dual_add_f32 v51, v19, v4 :: v_dual_mov_b32 v4, v53
	v_mov_b32_e32 v5, v51
	v_cmpx_ngt_f32_e32 v51, v53
	s_cbranch_execz .LBB8_113
; %bb.110:
	s_mov_b32 s3, exec_lo
	v_cmpx_gt_f32_e32 v51, v52
; %bb.111:
	v_mov_b32_e32 v52, v51
; %bb.112:
	s_or_b32 exec_lo, exec_lo, s3
	s_delay_alu instid0(VALU_DEP_1)
	v_dual_mov_b32 v4, v52 :: v_dual_mov_b32 v5, v53
.LBB8_113:
	s_or_b32 exec_lo, exec_lo, s2
	v_lshrrev_b32_e32 v0, 16, v0
	s_mov_b32 s2, exec_lo
	s_delay_alu instid0(VALU_DEP_1) | instskip(NEXT) | instid1(VALU_DEP_1)
	v_cvt_f32_f16_e32 v0, v0
	v_add_f32_e32 v52, v38, v0
	s_delay_alu instid0(VALU_DEP_1)
	v_dual_mov_b32 v54, v5 :: v_dual_mov_b32 v55, v52
	v_cmpx_ngt_f32_e32 v52, v5
	s_cbranch_execz .LBB8_117
; %bb.114:
	s_mov_b32 s3, exec_lo
	v_cmpx_gt_f32_e32 v52, v4
; %bb.115:
	v_mov_b32_e32 v4, v52
; %bb.116:
	s_or_b32 exec_lo, exec_lo, s3
	s_delay_alu instid0(VALU_DEP_1)
	v_dual_mov_b32 v54, v4 :: v_dual_mov_b32 v55, v5
.LBB8_117:
	s_or_b32 exec_lo, exec_lo, s2
	v_cvt_f32_f16_e32 v0, v1
	s_mov_b32 s2, exec_lo
	s_delay_alu instid0(VALU_DEP_1) | instskip(NEXT) | instid1(VALU_DEP_1)
	v_dual_add_f32 v53, v12, v0 :: v_dual_mov_b32 v0, v55
	v_mov_b32_e32 v4, v53
	v_cmpx_ngt_f32_e32 v53, v55
	s_cbranch_execz .LBB8_121
; %bb.118:
	s_mov_b32 s3, exec_lo
	v_cmpx_gt_f32_e32 v53, v54
; %bb.119:
	v_mov_b32_e32 v54, v53
; %bb.120:
	s_or_b32 exec_lo, exec_lo, s3
	s_delay_alu instid0(VALU_DEP_1)
	v_mov_b32_e32 v0, v54
	v_mov_b32_e32 v4, v55
.LBB8_121:
	s_or_b32 exec_lo, exec_lo, s2
	v_lshrrev_b32_e32 v1, 16, v1
	s_mov_b32 s2, exec_lo
	s_delay_alu instid0(VALU_DEP_2) | instskip(NEXT) | instid1(VALU_DEP_2)
	v_mov_b32_e32 v5, v4
	v_cvt_f32_f16_e32 v1, v1
	s_delay_alu instid0(VALU_DEP_1) | instskip(NEXT) | instid1(VALU_DEP_1)
	v_add_f32_e32 v54, v39, v1
	v_mov_b32_e32 v56, v54
	v_cmpx_ngt_f32_e32 v54, v4
	s_cbranch_execz .LBB8_125
; %bb.122:
	s_mov_b32 s3, exec_lo
	v_cmpx_gt_f32_e32 v54, v0
; %bb.123:
	v_mov_b32_e32 v0, v54
; %bb.124:
	s_or_b32 exec_lo, exec_lo, s3
	s_delay_alu instid0(VALU_DEP_1)
	v_mov_b32_e32 v5, v0
	v_mov_b32_e32 v56, v4
.LBB8_125:
	s_or_b32 exec_lo, exec_lo, s2
	v_cvt_f32_f16_e32 v0, v2
	s_mov_b32 s2, exec_lo
	s_delay_alu instid0(VALU_DEP_1) | instskip(NEXT) | instid1(VALU_DEP_1)
	v_dual_add_f32 v55, v13, v0 :: v_dual_mov_b32 v0, v56
	v_mov_b32_e32 v1, v55
	v_cmpx_ngt_f32_e32 v55, v56
	s_cbranch_execz .LBB8_129
; %bb.126:
	s_mov_b32 s3, exec_lo
	v_cmpx_gt_f32_e32 v55, v5
; %bb.127:
	v_mov_b32_e32 v5, v55
; %bb.128:
	s_or_b32 exec_lo, exec_lo, s3
	s_delay_alu instid0(VALU_DEP_1)
	v_dual_mov_b32 v0, v5 :: v_dual_mov_b32 v1, v56
.LBB8_129:
	s_or_b32 exec_lo, exec_lo, s2
	v_lshrrev_b32_e32 v2, 16, v2
	s_mov_b32 s2, exec_lo
	s_delay_alu instid0(VALU_DEP_1) | instskip(NEXT) | instid1(VALU_DEP_1)
	v_cvt_f32_f16_e32 v2, v2
	v_add_f32_e32 v56, v40, v2
	v_mov_b32_e32 v2, v1
	s_delay_alu instid0(VALU_DEP_2)
	v_mov_b32_e32 v4, v56
	v_cmpx_ngt_f32_e32 v56, v1
	s_cbranch_execz .LBB8_133
; %bb.130:
	s_mov_b32 s3, exec_lo
	v_cmpx_gt_f32_e32 v56, v0
; %bb.131:
	v_mov_b32_e32 v0, v56
; %bb.132:
	s_or_b32 exec_lo, exec_lo, s3
	s_delay_alu instid0(VALU_DEP_1)
	v_mov_b32_e32 v2, v0
	v_mov_b32_e32 v4, v1
.LBB8_133:
	s_or_b32 exec_lo, exec_lo, s2
	v_cvt_f32_f16_e32 v0, v3
	s_mov_b32 s2, exec_lo
	s_delay_alu instid0(VALU_DEP_1) | instskip(NEXT) | instid1(VALU_DEP_1)
	v_dual_add_f32 v57, v14, v0 :: v_dual_mov_b32 v0, v4
	v_mov_b32_e32 v1, v57
	v_cmpx_ngt_f32_e32 v57, v4
	s_cbranch_execz .LBB8_137
; %bb.134:
	s_mov_b32 s3, exec_lo
	v_cmpx_gt_f32_e32 v57, v2
; %bb.135:
	v_mov_b32_e32 v2, v57
; %bb.136:
	s_or_b32 exec_lo, exec_lo, s3
	s_delay_alu instid0(VALU_DEP_1)
	v_dual_mov_b32 v0, v2 :: v_dual_mov_b32 v1, v4
.LBB8_137:
	s_or_b32 exec_lo, exec_lo, s2
	v_lshrrev_b32_e32 v2, 16, v3
	s_mov_b32 s2, exec_lo
	s_delay_alu instid0(VALU_DEP_1) | instskip(NEXT) | instid1(VALU_DEP_1)
	v_cvt_f32_f16_e32 v2, v2
	v_add_f32_e32 v58, v15, v2
	s_delay_alu instid0(VALU_DEP_1)
	v_dual_mov_b32 v2, v1 :: v_dual_mov_b32 v3, v58
	v_cmpx_ngt_f32_e32 v58, v1
	s_cbranch_execz .LBB8_141
; %bb.138:
	s_mov_b32 s3, exec_lo
	v_cmpx_gt_f32_e32 v58, v0
; %bb.139:
	v_mov_b32_e32 v0, v58
; %bb.140:
	s_or_b32 exec_lo, exec_lo, s3
	s_delay_alu instid0(VALU_DEP_1)
	v_dual_mov_b32 v2, v0 :: v_dual_mov_b32 v3, v1
.LBB8_141:
	s_or_b32 exec_lo, exec_lo, s2
	v_cmp_lt_i64_e64 s2, s[46:47], 8
	s_delay_alu instid0(VALU_DEP_1)
	s_and_b32 vcc_lo, exec_lo, s2
	s_cbranch_vccz .LBB8_144
; %bb.142:
	v_add_f32_e32 v0, v2, v3
	s_sub_u32 s4, 8, s46
	s_subb_u32 s5, 0, s47
	s_mov_b64 s[6:7], 0
.LBB8_143:                              ; =>This Inner Loop Header: Depth=1
	s_delay_alu instid0(VALU_DEP_1) | instskip(SKIP_1) | instid1(VALU_DEP_2)
	v_mov_b32_dpp v1, v0 quad_perm:[1,0,3,2] row_mask:0xf bank_mask:0xf
	v_mov_b32_dpp v2, v27 quad_perm:[1,0,3,2] row_mask:0xf bank_mask:0xf
	v_cmp_eq_f32_e32 vcc_lo, v0, v1
	s_delay_alu instid0(VALU_DEP_2) | instskip(SKIP_1) | instid1(VALU_DEP_2)
	v_cmp_lt_i32_e64 s2, v27, v2
	v_cmp_lt_f32_e64 s3, v0, v1
	s_and_b32 s2, s2, vcc_lo
	s_delay_alu instid0(VALU_DEP_1) | instid1(SALU_CYCLE_1)
	s_or_b32 vcc_lo, s3, s2
	v_dual_cndmask_b32 v1, v1, v0 :: v_dual_cndmask_b32 v2, v2, v27
	s_delay_alu instid0(VALU_DEP_1) | instskip(NEXT) | instid1(VALU_DEP_2)
	v_mov_b32_dpp v3, v1 quad_perm:[2,3,0,1] row_mask:0xf bank_mask:0xf
	v_mov_b32_dpp v4, v2 quad_perm:[2,3,0,1] row_mask:0xf bank_mask:0xf
	s_delay_alu instid0(VALU_DEP_2) | instskip(NEXT) | instid1(VALU_DEP_2)
	v_cmp_eq_f32_e32 vcc_lo, v1, v3
	v_cmp_lt_i32_e64 s2, v2, v4
	s_delay_alu instid0(VALU_DEP_1) | instskip(SKIP_2) | instid1(VALU_DEP_2)
	s_and_b32 vcc_lo, vcc_lo, s2
	v_cmp_lt_f32_e64 s2, v1, v3
	v_cndmask_b32_e32 v5, v3, v1, vcc_lo
	s_or_b32 vcc_lo, s2, vcc_lo
	s_add_u32 s6, s6, 1
	v_cndmask_b32_e32 v2, v4, v2, vcc_lo
	s_delay_alu instid0(VALU_DEP_2) | instskip(SKIP_1) | instid1(SALU_CYCLE_1)
	v_cndmask_b32_e64 v1, v5, v1, s2
	s_addc_u32 s7, s7, 0
	v_cmp_le_i64_e64 s2, s[4:5], s[6:7]
	s_delay_alu instid0(VALU_DEP_3) | instskip(NEXT) | instid1(VALU_DEP_3)
	v_mov_b32_dpp v3, v2 row_half_mirror row_mask:0xf bank_mask:0xf
	v_mov_b32_dpp v4, v1 row_half_mirror row_mask:0xf bank_mask:0xf
	s_delay_alu instid0(VALU_DEP_2) | instskip(NEXT) | instid1(VALU_DEP_2)
	v_min_i32_e32 v5, v2, v3
	v_cmp_eq_f32_e32 vcc_lo, v1, v4
	s_delay_alu instid0(VALU_DEP_2) | instskip(SKIP_1) | instid1(VALU_DEP_2)
	v_cndmask_b32_e32 v3, v3, v5, vcc_lo
	v_cmp_lt_f32_e32 vcc_lo, v1, v4
	v_cndmask_b32_e32 v1, v3, v2, vcc_lo
	s_delay_alu instid0(VALU_DEP_1) | instskip(NEXT) | instid1(VALU_DEP_1)
	v_mul_hi_i32 v1, 0x2aaaaaab, v1
	v_lshrrev_b32_e32 v2, 31, v1
	v_ashrrev_i32_e32 v1, 2, v1
	s_delay_alu instid0(VALU_DEP_1) | instskip(NEXT) | instid1(VALU_DEP_1)
	v_add_nc_u32_e32 v1, v1, v2
	v_cmp_eq_u32_e32 vcc_lo, v26, v1
	v_cndmask_b32_e64 v8, v8, 0x7f7fffff, vcc_lo
	v_cndmask_b32_e64 v0, v0, 0x7f7fffff, vcc_lo
	s_and_b32 vcc_lo, exec_lo, s2
	s_cbranch_vccz .LBB8_143
.LBB8_144:
	s_sub_u32 s26, s48, s50
	s_subb_u32 s27, s49, s51
	s_mov_b64 s[2:3], src_shared_base
	s_cmp_lg_u32 0, -1
	v_lshlrev_b32_e32 v4, 2, v33
	s_cselect_b32 s2, s3, 0
	s_cselect_b32 s3, 0, 0
	s_load_b32 s30, s[0:1], 0x48
	s_add_u32 s4, s3, 0xff
	s_addc_u32 s3, s2, 0
	s_and_b32 s2, s4, 0xffffff00
	s_delay_alu instid0(SALU_CYCLE_1) | instskip(SKIP_1) | instid1(VALU_DEP_1)
	v_mad_u64_u32 v[0:1], null, v4, s48, s[2:3]
	v_cmp_lt_i64_e64 s2, s[26:27], 1
	s_and_b32 vcc_lo, exec_lo, s2
	s_delay_alu instid0(VALU_DEP_2) | instskip(SKIP_1) | instid1(VALU_DEP_2)
	v_mad_u64_u32 v[2:3], null, v4, s49, v[1:2]
	v_cmp_eq_u32_e64 s2, 0, v26
	v_mov_b32_e32 v1, v2
	s_cbranch_vccnz .LBB8_155
; %bb.145:
	s_waitcnt lgkmcnt(0)
	v_mad_u64_u32 v[2:3], null, s30, v24, 0
	s_ashr_i32 s3, s30, 31
	v_add_nc_u32_e32 v64, 13, v27
	v_add_nc_u32_e32 v59, 8, v27
	;; [unrolled: 1-line block ×3, first 2 shown]
	v_dual_mov_b32 v33, 0 :: v_dual_add_nc_u32 v62, 11, v27
	v_mad_u64_u32 v[4:5], null, s3, v24, v[3:4]
	v_add_nc_u32_e32 v60, 9, v27
	v_add_nc_u32_e32 v63, 12, v27
	;; [unrolled: 1-line block ×5, first 2 shown]
	v_dual_mov_b32 v3, v4 :: v_dual_add_nc_u32 v68, 17, v27
	v_mov_b32_e32 v5, v1
	v_add_nc_u32_e32 v69, 18, v27
	v_add_nc_u32_e32 v70, 19, v27
	;; [unrolled: 1-line block ×3, first 2 shown]
	v_lshlrev_b64 v[2:3], 2, v[2:3]
	v_add_nc_u32_e32 v72, 21, v27
	v_add_nc_u32_e32 v73, 22, v27
	;; [unrolled: 1-line block ×3, first 2 shown]
	v_mov_b32_e32 v4, v0
	s_mov_b64 s[28:29], 0
	v_add_co_u32 v2, vcc_lo, s42, v2
	v_add_co_ci_u32_e32 v3, vcc_lo, s43, v3, vcc_lo
	s_branch .LBB8_147
.LBB8_146:                              ;   in Loop: Header=BB8_147 Depth=1
	s_or_b32 exec_lo, exec_lo, s3
	s_add_u32 s28, s28, 1
	s_addc_u32 s29, s29, 0
	v_add_co_u32 v2, vcc_lo, v2, 4
	v_cmp_le_i64_e64 s3, s[26:27], s[28:29]
	v_add_co_ci_u32_e32 v3, vcc_lo, 0, v3, vcc_lo
	v_add_co_u32 v4, vcc_lo, v4, 4
	v_add_co_ci_u32_e32 v5, vcc_lo, 0, v5, vcc_lo
	s_delay_alu instid0(VALU_DEP_4)
	s_and_b32 vcc_lo, exec_lo, s3
	s_cbranch_vccnz .LBB8_156
.LBB8_147:                              ; =>This Inner Loop Header: Depth=1
	v_dual_mov_b32 v75, 0xff7fffff :: v_dual_mov_b32 v76, v27
	s_mov_b32 s3, exec_lo
	v_cmpx_neq_f32_e32 0x7f7fffff, v8
	s_cbranch_execz .LBB8_149
; %bb.148:                              ;   in Loop: Header=BB8_147 Depth=1
	v_cmp_gt_f32_e32 vcc_lo, v41, v8
	v_cndmask_b32_e32 v75, v8, v41, vcc_lo
	v_cndmask_b32_e64 v76, 0, 1, vcc_lo
	s_delay_alu instid0(VALU_DEP_2) | instskip(SKIP_1) | instid1(VALU_DEP_3)
	v_cmp_gt_f32_e32 vcc_lo, v42, v75
	v_cndmask_b32_e32 v75, v75, v42, vcc_lo
	v_cndmask_b32_e64 v76, v76, 2, vcc_lo
	s_delay_alu instid0(VALU_DEP_2) | instskip(SKIP_1) | instid1(VALU_DEP_3)
	v_cmp_gt_f32_e32 vcc_lo, v9, v75
	v_cndmask_b32_e32 v75, v75, v9, vcc_lo
	v_cndmask_b32_e64 v76, v76, 3, vcc_lo
	s_delay_alu instid0(VALU_DEP_2) | instskip(SKIP_1) | instid1(VALU_DEP_3)
	v_cmp_gt_f32_e32 vcc_lo, v43, v75
	v_cndmask_b32_e32 v75, v75, v43, vcc_lo
	v_cndmask_b32_e64 v76, v76, 4, vcc_lo
	s_delay_alu instid0(VALU_DEP_2) | instskip(SKIP_1) | instid1(VALU_DEP_3)
	v_cmp_gt_f32_e32 vcc_lo, v10, v75
	v_cndmask_b32_e32 v75, v75, v10, vcc_lo
	v_cndmask_b32_e64 v76, v76, 5, vcc_lo
	s_delay_alu instid0(VALU_DEP_2) | instskip(SKIP_1) | instid1(VALU_DEP_3)
	v_cmp_gt_f32_e32 vcc_lo, v44, v75
	v_cndmask_b32_e32 v75, v75, v44, vcc_lo
	v_cndmask_b32_e64 v76, v76, 6, vcc_lo
	s_delay_alu instid0(VALU_DEP_2) | instskip(SKIP_1) | instid1(VALU_DEP_3)
	v_cmp_gt_f32_e32 vcc_lo, v11, v75
	v_cndmask_b32_e32 v75, v75, v11, vcc_lo
	v_cndmask_b32_e64 v76, v76, 7, vcc_lo
	s_delay_alu instid0(VALU_DEP_2) | instskip(NEXT) | instid1(VALU_DEP_2)
	v_cmp_gt_f32_e32 vcc_lo, v45, v75
	v_or_b32_e32 v76, v76, v27
	s_delay_alu instid0(VALU_DEP_1) | instskip(NEXT) | instid1(VALU_DEP_1)
	v_dual_cndmask_b32 v75, v75, v45 :: v_dual_cndmask_b32 v76, v76, v59
	v_cmp_gt_f32_e32 vcc_lo, v46, v75
	s_delay_alu instid0(VALU_DEP_2) | instskip(NEXT) | instid1(VALU_DEP_1)
	v_dual_cndmask_b32 v75, v75, v46 :: v_dual_cndmask_b32 v76, v76, v60
	v_cmp_gt_f32_e32 vcc_lo, v47, v75
	s_delay_alu instid0(VALU_DEP_2) | instskip(NEXT) | instid1(VALU_DEP_1)
	;; [unrolled: 3-line block ×7, first 2 shown]
	v_dual_cndmask_b32 v75, v75, v7 :: v_dual_cndmask_b32 v76, v76, v66
	v_cmp_gt_f32_e32 vcc_lo, v51, v75
	v_cndmask_b32_e32 v75, v75, v51, vcc_lo
	s_delay_alu instid0(VALU_DEP_3) | instskip(NEXT) | instid1(VALU_DEP_2)
	v_cndmask_b32_e32 v76, v76, v67, vcc_lo
	v_cmp_gt_f32_e32 vcc_lo, v52, v75
	v_cndmask_b32_e32 v75, v75, v52, vcc_lo
	s_delay_alu instid0(VALU_DEP_3) | instskip(NEXT) | instid1(VALU_DEP_2)
	v_cndmask_b32_e32 v76, v76, v68, vcc_lo
	;; [unrolled: 4-line block ×7, first 2 shown]
	v_cmp_gt_f32_e32 vcc_lo, v58, v75
	s_delay_alu instid0(VALU_DEP_2)
	v_cndmask_b32_e32 v76, v76, v74, vcc_lo
	v_cndmask_b32_e32 v75, v75, v58, vcc_lo
.LBB8_149:                              ;   in Loop: Header=BB8_147 Depth=1
	s_or_b32 exec_lo, exec_lo, s3
	s_delay_alu instid0(VALU_DEP_1) | instskip(NEXT) | instid1(VALU_DEP_3)
	v_mov_b32_dpp v77, v75 quad_perm:[1,0,3,2] row_mask:0xf bank_mask:0xf
	v_mov_b32_dpp v78, v76 quad_perm:[1,0,3,2] row_mask:0xf bank_mask:0xf
	s_mov_b32 s31, exec_lo
	s_delay_alu instid0(VALU_DEP_2) | instskip(NEXT) | instid1(VALU_DEP_2)
	v_cmp_eq_f32_e32 vcc_lo, v75, v77
	v_cmp_lt_i32_e64 s3, v76, v78
	v_cmp_gt_f32_e64 s4, v75, v77
	s_delay_alu instid0(VALU_DEP_2)
	s_and_b32 s3, vcc_lo, s3
	s_delay_alu instid0(VALU_DEP_1) | instid1(SALU_CYCLE_1)
	s_or_b32 vcc_lo, s4, s3
	v_dual_cndmask_b32 v75, v77, v75 :: v_dual_cndmask_b32 v76, v78, v76
	s_delay_alu instid0(VALU_DEP_1) | instskip(NEXT) | instid1(VALU_DEP_2)
	v_mov_b32_dpp v77, v75 quad_perm:[2,3,0,1] row_mask:0xf bank_mask:0xf
	v_mov_b32_dpp v78, v76 quad_perm:[2,3,0,1] row_mask:0xf bank_mask:0xf
	s_delay_alu instid0(VALU_DEP_2) | instskip(NEXT) | instid1(VALU_DEP_2)
	v_cmp_eq_f32_e32 vcc_lo, v75, v77
	v_cmp_lt_i32_e64 s3, v76, v78
	s_delay_alu instid0(VALU_DEP_1) | instskip(SKIP_2) | instid1(VALU_DEP_2)
	s_and_b32 vcc_lo, vcc_lo, s3
	v_cmp_gt_f32_e64 s3, v75, v77
	v_cndmask_b32_e32 v79, v77, v75, vcc_lo
	s_or_b32 vcc_lo, s3, vcc_lo
	v_cndmask_b32_e32 v76, v78, v76, vcc_lo
	s_delay_alu instid0(VALU_DEP_2) | instskip(NEXT) | instid1(VALU_DEP_2)
	v_cndmask_b32_e64 v75, v79, v75, s3
	v_mov_b32_dpp v77, v76 row_half_mirror row_mask:0xf bank_mask:0xf
	s_delay_alu instid0(VALU_DEP_2) | instskip(NEXT) | instid1(VALU_DEP_2)
	v_mov_b32_dpp v78, v75 row_half_mirror row_mask:0xf bank_mask:0xf
	v_min_i32_e32 v79, v76, v77
	s_delay_alu instid0(VALU_DEP_2) | instskip(NEXT) | instid1(VALU_DEP_2)
	v_cmp_eq_f32_e32 vcc_lo, v75, v78
	v_cndmask_b32_e32 v77, v77, v79, vcc_lo
	v_cmp_gt_f32_e32 vcc_lo, v75, v78
	s_delay_alu instid0(VALU_DEP_2) | instskip(NEXT) | instid1(VALU_DEP_1)
	v_cndmask_b32_e32 v75, v77, v76, vcc_lo
	v_mul_hi_i32 v76, 0x2aaaaaab, v75
	s_delay_alu instid0(VALU_DEP_1) | instskip(SKIP_1) | instid1(VALU_DEP_1)
	v_lshrrev_b32_e32 v77, 31, v76
	v_ashrrev_i32_e32 v76, 2, v76
	v_add_nc_u32_e32 v76, v76, v77
	s_delay_alu instid0(VALU_DEP_1)
	v_cmpx_eq_u32_e64 v26, v76
	s_cbranch_execz .LBB8_153
; %bb.150:                              ;   in Loop: Header=BB8_147 Depth=1
	v_sub_nc_u32_e32 v76, v75, v27
	s_mov_b32 s33, exec_lo
	s_delay_alu instid0(VALU_DEP_1)
	v_cmp_eq_u32_e32 vcc_lo, 1, v76
	v_cmp_eq_u32_e64 s3, 2, v76
	v_cmp_eq_u32_e64 s4, 3, v76
	;; [unrolled: 1-line block ×22, first 2 shown]
	v_cmpx_gt_u32_e32 24, v76
	s_cbranch_execz .LBB8_152
; %bb.151:                              ;   in Loop: Header=BB8_147 Depth=1
	v_cndmask_b32_e32 v77, v28, v29, vcc_lo
	s_delay_alu instid0(VALU_DEP_1) | instskip(NEXT) | instid1(VALU_DEP_1)
	v_cndmask_b32_e64 v77, v77, v20, s3
	v_cndmask_b32_e64 v77, v77, v30, s4
	s_delay_alu instid0(VALU_DEP_1) | instskip(NEXT) | instid1(VALU_DEP_1)
	v_cndmask_b32_e64 v77, v77, v21, s5
	v_cndmask_b32_e64 v77, v77, v31, s6
	s_delay_alu instid0(VALU_DEP_1) | instskip(NEXT) | instid1(VALU_DEP_1)
	v_cndmask_b32_e64 v77, v77, v22, s7
	v_cndmask_b32_e64 v77, v77, v32, s8
	s_delay_alu instid0(VALU_DEP_1) | instskip(NEXT) | instid1(VALU_DEP_1)
	v_cndmask_b32_e64 v77, v77, v23, s9
	v_cndmask_b32_e64 v77, v77, v34, s10
	s_delay_alu instid0(VALU_DEP_1) | instskip(NEXT) | instid1(VALU_DEP_1)
	v_cndmask_b32_e64 v77, v77, v16, s11
	v_cndmask_b32_e64 v77, v77, v35, s12
	s_delay_alu instid0(VALU_DEP_1) | instskip(NEXT) | instid1(VALU_DEP_1)
	v_cndmask_b32_e64 v77, v77, v17, s13
	v_cndmask_b32_e64 v77, v77, v36, s14
	s_delay_alu instid0(VALU_DEP_1) | instskip(NEXT) | instid1(VALU_DEP_1)
	v_cndmask_b32_e64 v77, v77, v18, s15
	v_cndmask_b32_e64 v77, v77, v37, s16
	s_delay_alu instid0(VALU_DEP_1) | instskip(NEXT) | instid1(VALU_DEP_1)
	v_cndmask_b32_e64 v77, v77, v19, s17
	v_cndmask_b32_e64 v77, v77, v38, s18
	s_delay_alu instid0(VALU_DEP_1) | instskip(NEXT) | instid1(VALU_DEP_1)
	v_cndmask_b32_e64 v77, v77, v12, s19
	v_cndmask_b32_e64 v77, v77, v39, s20
	s_delay_alu instid0(VALU_DEP_1) | instskip(NEXT) | instid1(VALU_DEP_1)
	v_cndmask_b32_e64 v77, v77, v13, s21
	v_cndmask_b32_e64 v77, v77, v40, s22
	s_delay_alu instid0(VALU_DEP_1) | instskip(NEXT) | instid1(VALU_DEP_1)
	v_cndmask_b32_e64 v77, v77, v14, s23
	v_cndmask_b32_e64 v77, v77, v15, s24
	flat_store_b32 v[4:5], v77
.LBB8_152:                              ;   in Loop: Header=BB8_147 Depth=1
	s_or_b32 exec_lo, exec_lo, s33
	v_cmp_ne_u32_e64 s25, 0, v76
	v_cndmask_b32_e64 v41, v41, 0xff7fffff, vcc_lo
	v_cndmask_b32_e64 v42, v42, 0xff7fffff, s3
	v_cndmask_b32_e64 v9, v9, 0xff7fffff, s4
	;; [unrolled: 1-line block ×23, first 2 shown]
	global_store_b32 v[2:3], v75, off
.LBB8_153:                              ;   in Loop: Header=BB8_147 Depth=1
	s_or_b32 exec_lo, exec_lo, s31
	s_waitcnt lgkmcnt(0)
	s_waitcnt_vscnt null, 0x0
	s_barrier
	buffer_gl0_inv
	s_and_saveexec_b32 s3, s2
	s_cbranch_execz .LBB8_146
; %bb.154:                              ;   in Loop: Header=BB8_147 Depth=1
	flat_load_b32 v75, v[4:5]
	s_waitcnt vmcnt(0) lgkmcnt(0)
	v_add_f32_e32 v33, v33, v75
	s_branch .LBB8_146
.LBB8_155:
	v_mov_b32_e32 v33, 0
.LBB8_156:
	v_cmp_gt_i64_e64 s3, s[50:51], 0
	v_cmp_eq_u32_e64 s2, 0, v26
	s_delay_alu instid0(VALU_DEP_1) | instskip(NEXT) | instid1(SALU_CYCLE_1)
	s_and_b32 s4, s2, s3
	s_and_saveexec_b32 s3, s4
	s_cbranch_execz .LBB8_162
; %bb.157:
	v_dual_mov_b32 v2, v24 :: v_dual_mov_b32 v3, v25
	s_mov_b32 s4, exec_lo
	v_cmpx_le_u64_e64 s[50:51], v[24:25]
	s_cbranch_execz .LBB8_159
; %bb.158:
	v_cvt_f32_u32_e32 v2, s50
	s_sub_i32 s5, 0, s50
	s_delay_alu instid0(VALU_DEP_1) | instskip(SKIP_2) | instid1(VALU_DEP_1)
	v_rcp_iflag_f32_e32 v2, v2
	s_waitcnt_depctr 0xfff
	v_mul_f32_e32 v2, 0x4f7ffffe, v2
	v_cvt_u32_f32_e32 v2, v2
	s_delay_alu instid0(VALU_DEP_1) | instskip(NEXT) | instid1(VALU_DEP_1)
	v_mul_lo_u32 v3, s5, v2
	v_mul_hi_u32 v3, v2, v3
	s_delay_alu instid0(VALU_DEP_1) | instskip(NEXT) | instid1(VALU_DEP_1)
	v_add_nc_u32_e32 v2, v2, v3
	v_mul_hi_u32 v2, v24, v2
	s_delay_alu instid0(VALU_DEP_1) | instskip(NEXT) | instid1(VALU_DEP_1)
	v_mul_lo_u32 v2, v2, s50
	v_sub_nc_u32_e32 v2, v24, v2
	s_delay_alu instid0(VALU_DEP_1) | instskip(SKIP_1) | instid1(VALU_DEP_2)
	v_subrev_nc_u32_e32 v3, s50, v2
	v_cmp_le_u32_e32 vcc_lo, s50, v2
	v_cndmask_b32_e32 v2, v2, v3, vcc_lo
	s_delay_alu instid0(VALU_DEP_1) | instskip(SKIP_1) | instid1(VALU_DEP_2)
	v_subrev_nc_u32_e32 v3, s50, v2
	v_cmp_le_u32_e32 vcc_lo, s50, v2
	v_dual_cndmask_b32 v2, v2, v3 :: v_dual_mov_b32 v3, 0
.LBB8_159:
	s_or_b32 exec_lo, exec_lo, s4
	v_cvt_f64_f32_e32 v[4:5], v33
	s_load_b64 s[0:1], s[0:1], 0x40
	s_waitcnt lgkmcnt(0)
	s_delay_alu instid0(VALU_DEP_1) | instskip(SKIP_1) | instid1(VALU_DEP_2)
	v_div_scale_f64 v[6:7], null, s[0:1], s[0:1], v[4:5]
	v_div_scale_f64 v[12:13], vcc_lo, v[4:5], s[0:1], v[4:5]
	v_rcp_f64_e32 v[8:9], v[6:7]
	s_waitcnt_depctr 0xfff
	v_fma_f64 v[10:11], -v[6:7], v[8:9], 1.0
	s_delay_alu instid0(VALU_DEP_1) | instskip(NEXT) | instid1(VALU_DEP_1)
	v_fma_f64 v[8:9], v[8:9], v[10:11], v[8:9]
	v_fma_f64 v[10:11], -v[6:7], v[8:9], 1.0
	s_delay_alu instid0(VALU_DEP_1) | instskip(NEXT) | instid1(VALU_DEP_1)
	v_fma_f64 v[8:9], v[8:9], v[10:11], v[8:9]
	v_mul_f64 v[10:11], v[12:13], v[8:9]
	s_delay_alu instid0(VALU_DEP_1) | instskip(NEXT) | instid1(VALU_DEP_1)
	v_fma_f64 v[6:7], -v[6:7], v[10:11], v[12:13]
	v_div_fmas_f64 v[6:7], v[6:7], v[8:9], v[10:11]
	v_add_nc_u32_e32 v11, 0xc0, v2
	s_delay_alu instid0(VALU_DEP_2) | instskip(SKIP_2) | instid1(VALU_DEP_2)
	v_div_fixup_f64 v[4:5], v[6:7], s[0:1], v[4:5]
	v_mad_u64_u32 v[6:7], null, s30, v24, s[26:27]
	s_ashr_i32 s0, s30, 31
	v_cvt_f32_f64_e32 v8, v[4:5]
	s_delay_alu instid0(VALU_DEP_2) | instskip(NEXT) | instid1(VALU_DEP_1)
	v_mov_b32_e32 v4, v7
	v_mad_u64_u32 v[9:10], null, s0, v24, v[4:5]
	v_cmp_lt_u64_e64 s0, s[50:51], 2
	s_delay_alu instid0(VALU_DEP_2) | instskip(NEXT) | instid1(VALU_DEP_1)
	v_mov_b32_e32 v7, v9
	v_lshlrev_b64 v[4:5], 2, v[6:7]
	s_delay_alu instid0(VALU_DEP_1) | instskip(NEXT) | instid1(VALU_DEP_2)
	v_add_co_u32 v6, vcc_lo, s42, v4
	v_add_co_ci_u32_e32 v7, vcc_lo, s43, v5, vcc_lo
	v_add_co_u32 v9, vcc_lo, s40, v4
	v_add_co_ci_u32_e32 v10, vcc_lo, s41, v5, vcc_lo
	s_and_b32 vcc_lo, exec_lo, s0
	global_store_b32 v[6:7], v11, off
	global_store_b32 v[9:10], v8, off
	s_cbranch_vccnz .LBB8_162
; %bb.160:
	v_add_co_u32 v6, vcc_lo, v4, 4
	v_add_co_ci_u32_e32 v7, vcc_lo, 0, v5, vcc_lo
	s_mov_b64 s[0:1], 1
	s_delay_alu instid0(VALU_DEP_2) | instskip(NEXT) | instid1(VALU_DEP_2)
	v_add_co_u32 v4, vcc_lo, s40, v6
	v_add_co_ci_u32_e32 v5, vcc_lo, s41, v7, vcc_lo
	v_add_co_u32 v6, vcc_lo, s42, v6
	v_add_co_ci_u32_e32 v7, vcc_lo, s43, v7, vcc_lo
	.p2align	6
.LBB8_161:                              ; =>This Inner Loop Header: Depth=1
	s_delay_alu instid0(VALU_DEP_2)
	v_add_co_u32 v9, vcc_lo, v2, 1
	v_add_co_ci_u32_e32 v10, vcc_lo, 0, v3, vcc_lo
	v_add_nc_u32_e32 v2, 0xc1, v2
	s_add_u32 s0, s0, 1
	global_store_b32 v[4:5], v8, off
	v_add_co_u32 v4, vcc_lo, v4, 4
	s_addc_u32 s1, s1, 0
	v_add_co_ci_u32_e32 v5, vcc_lo, 0, v5, vcc_lo
	v_cmp_lt_u64_e64 s4, s[0:1], s[50:51]
	global_store_b32 v[6:7], v2, off
	v_add_co_u32 v6, vcc_lo, v6, 4
	v_dual_mov_b32 v2, v9 :: v_dual_mov_b32 v3, v10
	v_add_co_ci_u32_e32 v7, vcc_lo, 0, v7, vcc_lo
	s_and_b32 vcc_lo, exec_lo, s4
	s_cbranch_vccnz .LBB8_161
.LBB8_162:
	s_or_b32 exec_lo, exec_lo, s3
	v_cmp_gt_i64_e64 s3, s[48:49], 0
	s_mov_b64 s[0:1], 0
	s_waitcnt lgkmcnt(0)
	s_waitcnt_vscnt null, 0x0
	s_barrier
	buffer_gl0_inv
	s_and_b32 s2, s2, s3
	s_delay_alu instid0(SALU_CYCLE_1)
	s_and_b32 exec_lo, exec_lo, s2
	s_cbranch_execz .LBB8_169
; %bb.163:
	v_mad_u64_u32 v[2:3], null, s30, v24, 0
	s_ashr_i32 s2, s30, 31
	s_delay_alu instid0(VALU_DEP_1) | instid1(SALU_CYCLE_1)
	v_mad_u64_u32 v[4:5], null, s2, v24, v[3:4]
	v_cmp_lt_u64_e64 s2, s[48:49], 8
	s_delay_alu instid0(VALU_DEP_2) | instskip(NEXT) | instid1(VALU_DEP_1)
	v_mov_b32_e32 v3, v4
	v_lshlrev_b64 v[2:3], 2, v[2:3]
	s_delay_alu instid0(VALU_DEP_1) | instskip(NEXT) | instid1(VALU_DEP_2)
	v_add_co_u32 v2, vcc_lo, s40, v2
	v_add_co_ci_u32_e32 v3, vcc_lo, s41, v3, vcc_lo
	s_and_b32 vcc_lo, exec_lo, s2
	s_cbranch_vccnz .LBB8_166
; %bb.164:
	s_and_b32 s1, s49, 0x7fffffff
	s_and_b32 s0, s48, -8
	s_mov_b64 s[2:3], 0
	s_mov_b64 s[4:5], s[0:1]
.LBB8_165:                              ; =>This Inner Loop Header: Depth=1
	v_add_co_u32 v4, vcc_lo, v0, s2
	v_add_co_ci_u32_e32 v5, vcc_lo, s3, v1, vcc_lo
	flat_load_b32 v8, v[4:5]
	s_waitcnt vmcnt(0) lgkmcnt(0)
	v_div_scale_f32 v6, null, v33, v33, v8
	v_div_scale_f32 v10, vcc_lo, v8, v33, v8
	s_delay_alu instid0(VALU_DEP_2) | instskip(SKIP_2) | instid1(VALU_DEP_1)
	v_rcp_f32_e32 v7, v6
	s_waitcnt_depctr 0xfff
	v_fma_f32 v9, -v6, v7, 1.0
	v_fmac_f32_e32 v7, v9, v7
	s_delay_alu instid0(VALU_DEP_1) | instskip(NEXT) | instid1(VALU_DEP_1)
	v_mul_f32_e32 v9, v10, v7
	v_fma_f32 v11, -v6, v9, v10
	s_delay_alu instid0(VALU_DEP_1) | instskip(NEXT) | instid1(VALU_DEP_1)
	v_fmac_f32_e32 v9, v11, v7
	v_fma_f32 v6, -v6, v9, v10
	s_delay_alu instid0(VALU_DEP_1) | instskip(SKIP_2) | instid1(VALU_DEP_3)
	v_div_fmas_f32 v9, v6, v7, v9
	v_add_co_u32 v6, vcc_lo, v2, s2
	v_add_co_ci_u32_e32 v7, vcc_lo, s3, v3, vcc_lo
	v_div_fixup_f32 v8, v9, v33, v8
	s_add_u32 s2, s2, 32
	s_addc_u32 s3, s3, 0
	s_add_u32 s4, s4, -8
	s_addc_u32 s5, s5, -1
	global_store_b32 v[6:7], v8, off
	flat_load_b32 v8, v[4:5] offset:4
	s_cmp_lg_u64 s[4:5], 0
	s_waitcnt vmcnt(0) lgkmcnt(0)
	v_div_scale_f32 v9, null, v33, v33, v8
	v_div_scale_f32 v12, vcc_lo, v8, v33, v8
	s_delay_alu instid0(VALU_DEP_2) | instskip(SKIP_2) | instid1(VALU_DEP_1)
	v_rcp_f32_e32 v10, v9
	s_waitcnt_depctr 0xfff
	v_fma_f32 v11, -v9, v10, 1.0
	v_fmac_f32_e32 v10, v11, v10
	s_delay_alu instid0(VALU_DEP_1) | instskip(NEXT) | instid1(VALU_DEP_1)
	v_mul_f32_e32 v11, v12, v10
	v_fma_f32 v13, -v9, v11, v12
	s_delay_alu instid0(VALU_DEP_1) | instskip(NEXT) | instid1(VALU_DEP_1)
	v_fmac_f32_e32 v11, v13, v10
	v_fma_f32 v9, -v9, v11, v12
	s_delay_alu instid0(VALU_DEP_1) | instskip(NEXT) | instid1(VALU_DEP_1)
	v_div_fmas_f32 v9, v9, v10, v11
	v_div_fixup_f32 v8, v9, v33, v8
	global_store_b32 v[6:7], v8, off offset:4
	flat_load_b32 v8, v[4:5] offset:8
	s_waitcnt vmcnt(0) lgkmcnt(0)
	v_div_scale_f32 v9, null, v33, v33, v8
	v_div_scale_f32 v12, vcc_lo, v8, v33, v8
	s_delay_alu instid0(VALU_DEP_2) | instskip(SKIP_2) | instid1(VALU_DEP_1)
	v_rcp_f32_e32 v10, v9
	s_waitcnt_depctr 0xfff
	v_fma_f32 v11, -v9, v10, 1.0
	v_fmac_f32_e32 v10, v11, v10
	s_delay_alu instid0(VALU_DEP_1) | instskip(NEXT) | instid1(VALU_DEP_1)
	v_mul_f32_e32 v11, v12, v10
	v_fma_f32 v13, -v9, v11, v12
	s_delay_alu instid0(VALU_DEP_1) | instskip(NEXT) | instid1(VALU_DEP_1)
	v_fmac_f32_e32 v11, v13, v10
	v_fma_f32 v9, -v9, v11, v12
	s_delay_alu instid0(VALU_DEP_1) | instskip(NEXT) | instid1(VALU_DEP_1)
	v_div_fmas_f32 v9, v9, v10, v11
	v_div_fixup_f32 v8, v9, v33, v8
	global_store_b32 v[6:7], v8, off offset:8
	flat_load_b32 v8, v[4:5] offset:12
	;; [unrolled: 19-line block ×6, first 2 shown]
	s_waitcnt vmcnt(0) lgkmcnt(0)
	v_div_scale_f32 v5, null, v33, v33, v4
	v_div_scale_f32 v10, vcc_lo, v4, v33, v4
	s_delay_alu instid0(VALU_DEP_2) | instskip(SKIP_2) | instid1(VALU_DEP_1)
	v_rcp_f32_e32 v8, v5
	s_waitcnt_depctr 0xfff
	v_fma_f32 v9, -v5, v8, 1.0
	v_fmac_f32_e32 v8, v9, v8
	s_delay_alu instid0(VALU_DEP_1) | instskip(NEXT) | instid1(VALU_DEP_1)
	v_mul_f32_e32 v9, v10, v8
	v_fma_f32 v11, -v5, v9, v10
	s_delay_alu instid0(VALU_DEP_1) | instskip(NEXT) | instid1(VALU_DEP_1)
	v_fmac_f32_e32 v9, v11, v8
	v_fma_f32 v5, -v5, v9, v10
	s_delay_alu instid0(VALU_DEP_1) | instskip(NEXT) | instid1(VALU_DEP_1)
	v_div_fmas_f32 v5, v5, v8, v9
	v_div_fixup_f32 v4, v5, v33, v4
	global_store_b32 v[6:7], v4, off offset:28
	s_cbranch_scc1 .LBB8_165
.LBB8_166:
	s_and_b32 s2, s48, 7
	s_mov_b32 s3, 0
	s_delay_alu instid0(SALU_CYCLE_1)
	s_cmp_eq_u64 s[2:3], 0
	s_cbranch_scc1 .LBB8_169
; %bb.167:
	s_mov_b64 s[4:5], s[2:3]
	s_set_inst_prefetch_distance 0x1
	.p2align	6
.LBB8_168:                              ; =>This Inner Loop Header: Depth=1
	s_lshl_b64 s[6:7], s[0:1], 2
	s_add_i32 s2, s0, 1
	v_add_co_u32 v4, vcc_lo, v0, s6
	v_add_co_ci_u32_e32 v5, vcc_lo, s7, v1, vcc_lo
	s_add_u32 s4, s4, -1
	s_addc_u32 s5, s5, -1
	s_mov_b64 s[0:1], s[2:3]
	flat_load_b32 v6, v[4:5]
	s_cmp_lg_u64 s[4:5], 0
	s_waitcnt vmcnt(0) lgkmcnt(0)
	v_div_scale_f32 v4, null, v33, v33, v6
	v_div_scale_f32 v8, vcc_lo, v6, v33, v6
	s_delay_alu instid0(VALU_DEP_2) | instskip(SKIP_2) | instid1(VALU_DEP_1)
	v_rcp_f32_e32 v5, v4
	s_waitcnt_depctr 0xfff
	v_fma_f32 v7, -v4, v5, 1.0
	v_fmac_f32_e32 v5, v7, v5
	s_delay_alu instid0(VALU_DEP_1) | instskip(NEXT) | instid1(VALU_DEP_1)
	v_mul_f32_e32 v7, v8, v5
	v_fma_f32 v9, -v4, v7, v8
	s_delay_alu instid0(VALU_DEP_1) | instskip(NEXT) | instid1(VALU_DEP_1)
	v_fmac_f32_e32 v7, v9, v5
	v_fma_f32 v4, -v4, v7, v8
	s_delay_alu instid0(VALU_DEP_1) | instskip(SKIP_2) | instid1(VALU_DEP_3)
	v_div_fmas_f32 v7, v4, v5, v7
	v_add_co_u32 v4, vcc_lo, v2, s6
	v_add_co_ci_u32_e32 v5, vcc_lo, s7, v3, vcc_lo
	v_div_fixup_f32 v6, v7, v33, v6
	global_store_b32 v[4:5], v6, off
	s_cbranch_scc1 .LBB8_168
.LBB8_169:
	s_set_inst_prefetch_distance 0x2
	s_nop 0
	s_sendmsg sendmsg(MSG_DEALLOC_VGPRS)
	s_endpgm
	.section	.rodata,"a",@progbits
	.p2align	6, 0x0
	.amdhsa_kernel _Z21moe_fused_gate_kernelIDF16_Li24ELi192ELi8ELi1EEvPvS0_PfPilllldi
		.amdhsa_group_segment_fixed_size 0
		.amdhsa_private_segment_fixed_size 0
		.amdhsa_kernarg_size 76
		.amdhsa_user_sgpr_count 15
		.amdhsa_user_sgpr_dispatch_ptr 0
		.amdhsa_user_sgpr_queue_ptr 0
		.amdhsa_user_sgpr_kernarg_segment_ptr 1
		.amdhsa_user_sgpr_dispatch_id 0
		.amdhsa_user_sgpr_private_segment_size 0
		.amdhsa_wavefront_size32 1
		.amdhsa_uses_dynamic_stack 0
		.amdhsa_enable_private_segment 0
		.amdhsa_system_sgpr_workgroup_id_x 1
		.amdhsa_system_sgpr_workgroup_id_y 0
		.amdhsa_system_sgpr_workgroup_id_z 0
		.amdhsa_system_sgpr_workgroup_info 0
		.amdhsa_system_vgpr_workitem_id 1
		.amdhsa_next_free_vgpr 80
		.amdhsa_next_free_sgpr 52
		.amdhsa_reserve_vcc 1
		.amdhsa_float_round_mode_32 0
		.amdhsa_float_round_mode_16_64 0
		.amdhsa_float_denorm_mode_32 3
		.amdhsa_float_denorm_mode_16_64 3
		.amdhsa_dx10_clamp 1
		.amdhsa_ieee_mode 1
		.amdhsa_fp16_overflow 0
		.amdhsa_workgroup_processor_mode 1
		.amdhsa_memory_ordered 1
		.amdhsa_forward_progress 0
		.amdhsa_shared_vgpr_count 0
		.amdhsa_exception_fp_ieee_invalid_op 0
		.amdhsa_exception_fp_denorm_src 0
		.amdhsa_exception_fp_ieee_div_zero 0
		.amdhsa_exception_fp_ieee_overflow 0
		.amdhsa_exception_fp_ieee_underflow 0
		.amdhsa_exception_fp_ieee_inexact 0
		.amdhsa_exception_int_div_zero 0
	.end_amdhsa_kernel
	.section	.text._Z21moe_fused_gate_kernelIDF16_Li24ELi192ELi8ELi1EEvPvS0_PfPilllldi,"axG",@progbits,_Z21moe_fused_gate_kernelIDF16_Li24ELi192ELi8ELi1EEvPvS0_PfPilllldi,comdat
.Lfunc_end8:
	.size	_Z21moe_fused_gate_kernelIDF16_Li24ELi192ELi8ELi1EEvPvS0_PfPilllldi, .Lfunc_end8-_Z21moe_fused_gate_kernelIDF16_Li24ELi192ELi8ELi1EEvPvS0_PfPilllldi
                                        ; -- End function
	.section	.AMDGPU.csdata,"",@progbits
; Kernel info:
; codeLenInByte = 11708
; NumSgprs: 54
; NumVgprs: 80
; ScratchSize: 0
; MemoryBound: 1
; FloatMode: 240
; IeeeMode: 1
; LDSByteSize: 0 bytes/workgroup (compile time only)
; SGPRBlocks: 6
; VGPRBlocks: 9
; NumSGPRsForWavesPerEU: 54
; NumVGPRsForWavesPerEU: 80
; Occupancy: 16
; WaveLimiterHint : 0
; COMPUTE_PGM_RSRC2:SCRATCH_EN: 0
; COMPUTE_PGM_RSRC2:USER_SGPR: 15
; COMPUTE_PGM_RSRC2:TRAP_HANDLER: 0
; COMPUTE_PGM_RSRC2:TGID_X_EN: 1
; COMPUTE_PGM_RSRC2:TGID_Y_EN: 0
; COMPUTE_PGM_RSRC2:TGID_Z_EN: 0
; COMPUTE_PGM_RSRC2:TIDIG_COMP_CNT: 1
	.section	.text._Z21moe_fused_gate_kernelIfLi24ELi192ELi8ELi1EEvPvS0_PfPilllldi,"axG",@progbits,_Z21moe_fused_gate_kernelIfLi24ELi192ELi8ELi1EEvPvS0_PfPilllldi,comdat
	.protected	_Z21moe_fused_gate_kernelIfLi24ELi192ELi8ELi1EEvPvS0_PfPilllldi ; -- Begin function _Z21moe_fused_gate_kernelIfLi24ELi192ELi8ELi1EEvPvS0_PfPilllldi
	.globl	_Z21moe_fused_gate_kernelIfLi24ELi192ELi8ELi1EEvPvS0_PfPilllldi
	.p2align	8
	.type	_Z21moe_fused_gate_kernelIfLi24ELi192ELi8ELi1EEvPvS0_PfPilllldi,@function
_Z21moe_fused_gate_kernelIfLi24ELi192ELi8ELi1EEvPvS0_PfPilllldi: ; @_Z21moe_fused_gate_kernelIfLi24ELi192ELi8ELi1EEvPvS0_PfPilllldi
; %bb.0:
	s_load_b512 s[36:51], s[0:1], 0x0
	v_bfe_u32 v1, v0, 10, 10
	s_mov_b32 s2, exec_lo
	v_mov_b32_e32 v52, 0
	v_and_b32_e32 v0, 0x3ff, v0
	s_delay_alu instid0(VALU_DEP_3) | instskip(NEXT) | instid1(VALU_DEP_3)
	v_add_nc_u32_e32 v1, s15, v1
	v_mov_b32_e32 v49, v52
	s_delay_alu instid0(VALU_DEP_3) | instskip(NEXT) | instid1(VALU_DEP_1)
	v_lshrrev_b32_e32 v54, 3, v0
	v_lshl_add_u32 v48, v1, 2, v54
	s_waitcnt lgkmcnt(0)
	s_delay_alu instid0(VALU_DEP_1)
	v_cmpx_gt_i64_e64 s[44:45], v[48:49]
	s_cbranch_execz .LBB9_169
; %bb.1:
	v_and_b32_e32 v50, 7, v0
	v_mad_u64_u32 v[0:1], null, 0x300, v48, s[36:37]
	s_mov_b32 s2, exec_lo
	s_delay_alu instid0(VALU_DEP_2) | instskip(NEXT) | instid1(VALU_DEP_1)
	v_mul_u32_u24_e32 v51, 24, v50
	v_lshlrev_b32_e32 v20, 2, v51
	s_delay_alu instid0(VALU_DEP_1) | instskip(NEXT) | instid1(VALU_DEP_4)
	v_add_co_u32 v0, vcc_lo, v0, v20
	v_add_co_ci_u32_e32 v1, vcc_lo, 0, v1, vcc_lo
	s_clause 0x5
	global_load_b128 v[24:27], v[0:1], off offset:80
	global_load_b128 v[28:31], v[0:1], off offset:64
	;; [unrolled: 1-line block ×5, first 2 shown]
	global_load_b128 v[44:47], v[0:1], off
	s_clause 0x5
	global_load_b128 v[0:3], v20, s[38:39] offset:80
	global_load_b128 v[4:7], v20, s[38:39] offset:64
	global_load_b128 v[8:11], v20, s[38:39] offset:48
	global_load_b128 v[12:15], v20, s[38:39] offset:32
	global_load_b128 v[16:19], v20, s[38:39] offset:16
	global_load_b128 v[20:23], v20, s[38:39]
	s_waitcnt vmcnt(6)
	v_cmpx_o_f32_e32 v44, v44
	s_cbranch_execz .LBB9_3
; %bb.2:
	v_mul_f32_e32 v52, 0xbfb8aa3b, v44
	v_cmp_nlt_f32_e32 vcc_lo, 0x42ce8ed0, v44
	s_delay_alu instid0(VALU_DEP_2) | instskip(SKIP_1) | instid1(VALU_DEP_2)
	v_rndne_f32_e32 v53, v52
	v_fma_f32 v55, 0xbfb8aa3b, v44, -v52
	v_sub_f32_e32 v52, v52, v53
	s_delay_alu instid0(VALU_DEP_2) | instskip(SKIP_1) | instid1(VALU_DEP_2)
	v_fmamk_f32 v55, v44, 0xb2a5705f, v55
	v_cvt_i32_f32_e32 v53, v53
	v_add_f32_e32 v52, v52, v55
	s_delay_alu instid0(VALU_DEP_1) | instskip(SKIP_2) | instid1(VALU_DEP_1)
	v_exp_f32_e32 v52, v52
	s_waitcnt_depctr 0xfff
	v_ldexp_f32 v52, v52, v53
	v_cndmask_b32_e32 v52, 0, v52, vcc_lo
	v_cmp_ngt_f32_e32 vcc_lo, 0xc2b17218, v44
	s_delay_alu instid0(VALU_DEP_2) | instskip(NEXT) | instid1(VALU_DEP_1)
	v_cndmask_b32_e32 v44, 0x7f800000, v52, vcc_lo
	v_add_f32_e32 v44, 1.0, v44
	s_delay_alu instid0(VALU_DEP_1) | instskip(NEXT) | instid1(VALU_DEP_1)
	v_div_scale_f32 v52, null, v44, v44, 1.0
	v_rcp_f32_e32 v53, v52
	s_waitcnt_depctr 0xfff
	v_fma_f32 v55, -v52, v53, 1.0
	s_delay_alu instid0(VALU_DEP_1) | instskip(SKIP_1) | instid1(VALU_DEP_1)
	v_fmac_f32_e32 v53, v55, v53
	v_div_scale_f32 v55, vcc_lo, 1.0, v44, 1.0
	v_mul_f32_e32 v56, v55, v53
	s_delay_alu instid0(VALU_DEP_1) | instskip(NEXT) | instid1(VALU_DEP_1)
	v_fma_f32 v57, -v52, v56, v55
	v_fmac_f32_e32 v56, v57, v53
	s_delay_alu instid0(VALU_DEP_1) | instskip(NEXT) | instid1(VALU_DEP_1)
	v_fma_f32 v52, -v52, v56, v55
	v_div_fmas_f32 v52, v52, v53, v56
	s_delay_alu instid0(VALU_DEP_1)
	v_div_fixup_f32 v52, v52, v44, 1.0
.LBB9_3:
	s_or_b32 exec_lo, exec_lo, s2
	v_dual_mov_b32 v44, 0 :: v_dual_mov_b32 v53, 0
	s_mov_b32 s2, exec_lo
	v_cmpx_o_f32_e32 v45, v45
	s_cbranch_execz .LBB9_5
; %bb.4:
	v_mul_f32_e32 v53, 0xbfb8aa3b, v45
	v_cmp_nlt_f32_e32 vcc_lo, 0x42ce8ed0, v45
	s_delay_alu instid0(VALU_DEP_2) | instskip(SKIP_1) | instid1(VALU_DEP_2)
	v_rndne_f32_e32 v55, v53
	v_fma_f32 v56, 0xbfb8aa3b, v45, -v53
	v_sub_f32_e32 v53, v53, v55
	s_delay_alu instid0(VALU_DEP_2) | instskip(SKIP_1) | instid1(VALU_DEP_2)
	v_fmamk_f32 v56, v45, 0xb2a5705f, v56
	v_cvt_i32_f32_e32 v55, v55
	v_add_f32_e32 v53, v53, v56
	s_delay_alu instid0(VALU_DEP_1) | instskip(SKIP_2) | instid1(VALU_DEP_1)
	v_exp_f32_e32 v53, v53
	s_waitcnt_depctr 0xfff
	v_ldexp_f32 v53, v53, v55
	v_cndmask_b32_e32 v53, 0, v53, vcc_lo
	v_cmp_ngt_f32_e32 vcc_lo, 0xc2b17218, v45
	s_delay_alu instid0(VALU_DEP_2) | instskip(NEXT) | instid1(VALU_DEP_1)
	v_cndmask_b32_e32 v45, 0x7f800000, v53, vcc_lo
	v_add_f32_e32 v45, 1.0, v45
	s_delay_alu instid0(VALU_DEP_1) | instskip(NEXT) | instid1(VALU_DEP_1)
	v_div_scale_f32 v53, null, v45, v45, 1.0
	v_rcp_f32_e32 v55, v53
	s_waitcnt_depctr 0xfff
	v_fma_f32 v56, -v53, v55, 1.0
	s_delay_alu instid0(VALU_DEP_1) | instskip(SKIP_1) | instid1(VALU_DEP_1)
	v_fmac_f32_e32 v55, v56, v55
	v_div_scale_f32 v56, vcc_lo, 1.0, v45, 1.0
	v_mul_f32_e32 v57, v56, v55
	s_delay_alu instid0(VALU_DEP_1) | instskip(NEXT) | instid1(VALU_DEP_1)
	v_fma_f32 v58, -v53, v57, v56
	v_fmac_f32_e32 v57, v58, v55
	s_delay_alu instid0(VALU_DEP_1) | instskip(NEXT) | instid1(VALU_DEP_1)
	v_fma_f32 v53, -v53, v57, v56
	v_div_fmas_f32 v53, v53, v55, v57
	s_delay_alu instid0(VALU_DEP_1)
	v_div_fixup_f32 v53, v53, v45, 1.0
.LBB9_5:
	s_or_b32 exec_lo, exec_lo, s2
	s_delay_alu instid0(SALU_CYCLE_1)
	s_mov_b32 s2, exec_lo
	v_cmpx_o_f32_e32 v46, v46
	s_cbranch_execz .LBB9_7
; %bb.6:
	v_mul_f32_e32 v44, 0xbfb8aa3b, v46
	v_cmp_nlt_f32_e32 vcc_lo, 0x42ce8ed0, v46
	s_delay_alu instid0(VALU_DEP_2) | instskip(SKIP_1) | instid1(VALU_DEP_1)
	v_rndne_f32_e32 v45, v44
	v_fma_f32 v55, 0xbfb8aa3b, v46, -v44
	v_dual_sub_f32 v44, v44, v45 :: v_dual_fmamk_f32 v55, v46, 0xb2a5705f, v55
	v_cvt_i32_f32_e32 v45, v45
	s_delay_alu instid0(VALU_DEP_2) | instskip(NEXT) | instid1(VALU_DEP_1)
	v_add_f32_e32 v44, v44, v55
	v_exp_f32_e32 v44, v44
	s_waitcnt_depctr 0xfff
	v_ldexp_f32 v44, v44, v45
	s_delay_alu instid0(VALU_DEP_1) | instskip(SKIP_1) | instid1(VALU_DEP_2)
	v_cndmask_b32_e32 v44, 0, v44, vcc_lo
	v_cmp_ngt_f32_e32 vcc_lo, 0xc2b17218, v46
	v_cndmask_b32_e32 v44, 0x7f800000, v44, vcc_lo
	s_delay_alu instid0(VALU_DEP_1) | instskip(NEXT) | instid1(VALU_DEP_1)
	v_add_f32_e32 v44, 1.0, v44
	v_div_scale_f32 v45, null, v44, v44, 1.0
	s_delay_alu instid0(VALU_DEP_1) | instskip(SKIP_2) | instid1(VALU_DEP_1)
	v_rcp_f32_e32 v46, v45
	s_waitcnt_depctr 0xfff
	v_fma_f32 v55, -v45, v46, 1.0
	v_fmac_f32_e32 v46, v55, v46
	v_div_scale_f32 v55, vcc_lo, 1.0, v44, 1.0
	s_delay_alu instid0(VALU_DEP_1) | instskip(NEXT) | instid1(VALU_DEP_1)
	v_mul_f32_e32 v56, v55, v46
	v_fma_f32 v57, -v45, v56, v55
	s_delay_alu instid0(VALU_DEP_1) | instskip(NEXT) | instid1(VALU_DEP_1)
	v_fmac_f32_e32 v56, v57, v46
	v_fma_f32 v45, -v45, v56, v55
	s_delay_alu instid0(VALU_DEP_1) | instskip(NEXT) | instid1(VALU_DEP_1)
	v_div_fmas_f32 v45, v45, v46, v56
	v_div_fixup_f32 v44, v45, v44, 1.0
.LBB9_7:
	s_or_b32 exec_lo, exec_lo, s2
	v_dual_mov_b32 v45, 0 :: v_dual_mov_b32 v46, 0
	s_mov_b32 s2, exec_lo
	v_cmpx_o_f32_e32 v47, v47
	s_cbranch_execz .LBB9_9
; %bb.8:
	v_mul_f32_e32 v46, 0xbfb8aa3b, v47
	v_cmp_nlt_f32_e32 vcc_lo, 0x42ce8ed0, v47
	s_delay_alu instid0(VALU_DEP_2) | instskip(SKIP_1) | instid1(VALU_DEP_2)
	v_rndne_f32_e32 v55, v46
	v_fma_f32 v56, 0xbfb8aa3b, v47, -v46
	v_sub_f32_e32 v46, v46, v55
	s_delay_alu instid0(VALU_DEP_2) | instskip(SKIP_1) | instid1(VALU_DEP_2)
	v_fmamk_f32 v56, v47, 0xb2a5705f, v56
	v_cvt_i32_f32_e32 v55, v55
	v_add_f32_e32 v46, v46, v56
	s_delay_alu instid0(VALU_DEP_1) | instskip(SKIP_2) | instid1(VALU_DEP_1)
	v_exp_f32_e32 v46, v46
	s_waitcnt_depctr 0xfff
	v_ldexp_f32 v46, v46, v55
	v_cndmask_b32_e32 v46, 0, v46, vcc_lo
	v_cmp_ngt_f32_e32 vcc_lo, 0xc2b17218, v47
	s_delay_alu instid0(VALU_DEP_2) | instskip(NEXT) | instid1(VALU_DEP_1)
	v_cndmask_b32_e32 v46, 0x7f800000, v46, vcc_lo
	v_add_f32_e32 v46, 1.0, v46
	s_delay_alu instid0(VALU_DEP_1) | instskip(NEXT) | instid1(VALU_DEP_1)
	v_div_scale_f32 v47, null, v46, v46, 1.0
	v_rcp_f32_e32 v55, v47
	s_waitcnt_depctr 0xfff
	v_fma_f32 v56, -v47, v55, 1.0
	s_delay_alu instid0(VALU_DEP_1) | instskip(SKIP_1) | instid1(VALU_DEP_1)
	v_fmac_f32_e32 v55, v56, v55
	v_div_scale_f32 v56, vcc_lo, 1.0, v46, 1.0
	v_mul_f32_e32 v57, v56, v55
	s_delay_alu instid0(VALU_DEP_1) | instskip(NEXT) | instid1(VALU_DEP_1)
	v_fma_f32 v58, -v47, v57, v56
	v_fmac_f32_e32 v57, v58, v55
	s_delay_alu instid0(VALU_DEP_1) | instskip(NEXT) | instid1(VALU_DEP_1)
	v_fma_f32 v47, -v47, v57, v56
	v_div_fmas_f32 v47, v47, v55, v57
	s_delay_alu instid0(VALU_DEP_1)
	v_div_fixup_f32 v46, v47, v46, 1.0
.LBB9_9:
	s_or_b32 exec_lo, exec_lo, s2
	s_delay_alu instid0(SALU_CYCLE_1)
	s_mov_b32 s2, exec_lo
	v_cmpx_o_f32_e32 v40, v40
	s_cbranch_execz .LBB9_11
; %bb.10:
	v_mul_f32_e32 v45, 0xbfb8aa3b, v40
	v_cmp_nlt_f32_e32 vcc_lo, 0x42ce8ed0, v40
	s_delay_alu instid0(VALU_DEP_2) | instskip(SKIP_1) | instid1(VALU_DEP_2)
	v_rndne_f32_e32 v47, v45
	v_fma_f32 v55, 0xbfb8aa3b, v40, -v45
	v_sub_f32_e32 v45, v45, v47
	s_delay_alu instid0(VALU_DEP_2) | instskip(SKIP_1) | instid1(VALU_DEP_2)
	v_fmamk_f32 v55, v40, 0xb2a5705f, v55
	v_cvt_i32_f32_e32 v47, v47
	v_add_f32_e32 v45, v45, v55
	s_delay_alu instid0(VALU_DEP_1) | instskip(SKIP_2) | instid1(VALU_DEP_1)
	v_exp_f32_e32 v45, v45
	s_waitcnt_depctr 0xfff
	v_ldexp_f32 v45, v45, v47
	v_cndmask_b32_e32 v45, 0, v45, vcc_lo
	v_cmp_ngt_f32_e32 vcc_lo, 0xc2b17218, v40
	s_delay_alu instid0(VALU_DEP_2) | instskip(NEXT) | instid1(VALU_DEP_1)
	v_cndmask_b32_e32 v40, 0x7f800000, v45, vcc_lo
	v_add_f32_e32 v40, 1.0, v40
	s_delay_alu instid0(VALU_DEP_1) | instskip(NEXT) | instid1(VALU_DEP_1)
	v_div_scale_f32 v45, null, v40, v40, 1.0
	v_rcp_f32_e32 v47, v45
	s_waitcnt_depctr 0xfff
	v_fma_f32 v55, -v45, v47, 1.0
	s_delay_alu instid0(VALU_DEP_1) | instskip(SKIP_1) | instid1(VALU_DEP_1)
	v_fmac_f32_e32 v47, v55, v47
	v_div_scale_f32 v55, vcc_lo, 1.0, v40, 1.0
	v_mul_f32_e32 v56, v55, v47
	s_delay_alu instid0(VALU_DEP_1) | instskip(NEXT) | instid1(VALU_DEP_1)
	v_fma_f32 v57, -v45, v56, v55
	v_fmac_f32_e32 v56, v57, v47
	s_delay_alu instid0(VALU_DEP_1) | instskip(NEXT) | instid1(VALU_DEP_1)
	v_fma_f32 v45, -v45, v56, v55
	v_div_fmas_f32 v45, v45, v47, v56
	s_delay_alu instid0(VALU_DEP_1)
	v_div_fixup_f32 v45, v45, v40, 1.0
.LBB9_11:
	s_or_b32 exec_lo, exec_lo, s2
	v_dual_mov_b32 v40, 0 :: v_dual_mov_b32 v47, 0
	s_mov_b32 s2, exec_lo
	v_cmpx_o_f32_e32 v41, v41
	s_cbranch_execz .LBB9_13
; %bb.12:
	v_mul_f32_e32 v47, 0xbfb8aa3b, v41
	v_cmp_nlt_f32_e32 vcc_lo, 0x42ce8ed0, v41
	s_delay_alu instid0(VALU_DEP_2) | instskip(SKIP_1) | instid1(VALU_DEP_1)
	v_rndne_f32_e32 v55, v47
	v_fma_f32 v56, 0xbfb8aa3b, v41, -v47
	v_dual_sub_f32 v47, v47, v55 :: v_dual_fmamk_f32 v56, v41, 0xb2a5705f, v56
	v_cvt_i32_f32_e32 v55, v55
	s_delay_alu instid0(VALU_DEP_2) | instskip(NEXT) | instid1(VALU_DEP_1)
	v_add_f32_e32 v47, v47, v56
	v_exp_f32_e32 v47, v47
	s_waitcnt_depctr 0xfff
	v_ldexp_f32 v47, v47, v55
	s_delay_alu instid0(VALU_DEP_1) | instskip(SKIP_1) | instid1(VALU_DEP_2)
	v_cndmask_b32_e32 v47, 0, v47, vcc_lo
	v_cmp_ngt_f32_e32 vcc_lo, 0xc2b17218, v41
	v_cndmask_b32_e32 v41, 0x7f800000, v47, vcc_lo
	s_delay_alu instid0(VALU_DEP_1) | instskip(NEXT) | instid1(VALU_DEP_1)
	v_add_f32_e32 v41, 1.0, v41
	v_div_scale_f32 v47, null, v41, v41, 1.0
	s_delay_alu instid0(VALU_DEP_1) | instskip(SKIP_2) | instid1(VALU_DEP_1)
	v_rcp_f32_e32 v55, v47
	s_waitcnt_depctr 0xfff
	v_fma_f32 v56, -v47, v55, 1.0
	v_fmac_f32_e32 v55, v56, v55
	v_div_scale_f32 v56, vcc_lo, 1.0, v41, 1.0
	s_delay_alu instid0(VALU_DEP_1) | instskip(NEXT) | instid1(VALU_DEP_1)
	v_mul_f32_e32 v57, v56, v55
	v_fma_f32 v58, -v47, v57, v56
	s_delay_alu instid0(VALU_DEP_1) | instskip(NEXT) | instid1(VALU_DEP_1)
	v_fmac_f32_e32 v57, v58, v55
	v_fma_f32 v47, -v47, v57, v56
	s_delay_alu instid0(VALU_DEP_1) | instskip(NEXT) | instid1(VALU_DEP_1)
	v_div_fmas_f32 v47, v47, v55, v57
	v_div_fixup_f32 v47, v47, v41, 1.0
.LBB9_13:
	s_or_b32 exec_lo, exec_lo, s2
	s_delay_alu instid0(SALU_CYCLE_1)
	s_mov_b32 s2, exec_lo
	v_cmpx_o_f32_e32 v42, v42
	s_cbranch_execz .LBB9_15
; %bb.14:
	v_mul_f32_e32 v40, 0xbfb8aa3b, v42
	v_cmp_nlt_f32_e32 vcc_lo, 0x42ce8ed0, v42
	s_delay_alu instid0(VALU_DEP_2) | instskip(SKIP_1) | instid1(VALU_DEP_1)
	v_rndne_f32_e32 v41, v40
	v_fma_f32 v55, 0xbfb8aa3b, v42, -v40
	v_dual_sub_f32 v40, v40, v41 :: v_dual_fmamk_f32 v55, v42, 0xb2a5705f, v55
	v_cvt_i32_f32_e32 v41, v41
	s_delay_alu instid0(VALU_DEP_2) | instskip(NEXT) | instid1(VALU_DEP_1)
	v_add_f32_e32 v40, v40, v55
	v_exp_f32_e32 v40, v40
	s_waitcnt_depctr 0xfff
	v_ldexp_f32 v40, v40, v41
	s_delay_alu instid0(VALU_DEP_1) | instskip(SKIP_1) | instid1(VALU_DEP_2)
	v_cndmask_b32_e32 v40, 0, v40, vcc_lo
	v_cmp_ngt_f32_e32 vcc_lo, 0xc2b17218, v42
	v_cndmask_b32_e32 v40, 0x7f800000, v40, vcc_lo
	s_delay_alu instid0(VALU_DEP_1) | instskip(NEXT) | instid1(VALU_DEP_1)
	v_add_f32_e32 v40, 1.0, v40
	v_div_scale_f32 v41, null, v40, v40, 1.0
	s_delay_alu instid0(VALU_DEP_1) | instskip(SKIP_2) | instid1(VALU_DEP_1)
	v_rcp_f32_e32 v42, v41
	s_waitcnt_depctr 0xfff
	v_fma_f32 v55, -v41, v42, 1.0
	v_fmac_f32_e32 v42, v55, v42
	v_div_scale_f32 v55, vcc_lo, 1.0, v40, 1.0
	s_delay_alu instid0(VALU_DEP_1) | instskip(NEXT) | instid1(VALU_DEP_1)
	v_mul_f32_e32 v56, v55, v42
	v_fma_f32 v57, -v41, v56, v55
	s_delay_alu instid0(VALU_DEP_1) | instskip(NEXT) | instid1(VALU_DEP_1)
	v_fmac_f32_e32 v56, v57, v42
	v_fma_f32 v41, -v41, v56, v55
	s_delay_alu instid0(VALU_DEP_1) | instskip(NEXT) | instid1(VALU_DEP_1)
	v_div_fmas_f32 v41, v41, v42, v56
	v_div_fixup_f32 v40, v41, v40, 1.0
.LBB9_15:
	s_or_b32 exec_lo, exec_lo, s2
	v_dual_mov_b32 v41, 0 :: v_dual_mov_b32 v42, 0
	s_mov_b32 s2, exec_lo
	v_cmpx_o_f32_e32 v43, v43
	s_cbranch_execz .LBB9_17
; %bb.16:
	v_mul_f32_e32 v42, 0xbfb8aa3b, v43
	v_cmp_nlt_f32_e32 vcc_lo, 0x42ce8ed0, v43
	s_delay_alu instid0(VALU_DEP_2) | instskip(SKIP_1) | instid1(VALU_DEP_2)
	v_rndne_f32_e32 v55, v42
	v_fma_f32 v56, 0xbfb8aa3b, v43, -v42
	v_sub_f32_e32 v42, v42, v55
	s_delay_alu instid0(VALU_DEP_2) | instskip(SKIP_1) | instid1(VALU_DEP_2)
	v_fmamk_f32 v56, v43, 0xb2a5705f, v56
	v_cvt_i32_f32_e32 v55, v55
	v_add_f32_e32 v42, v42, v56
	s_delay_alu instid0(VALU_DEP_1) | instskip(SKIP_2) | instid1(VALU_DEP_1)
	v_exp_f32_e32 v42, v42
	s_waitcnt_depctr 0xfff
	v_ldexp_f32 v42, v42, v55
	v_cndmask_b32_e32 v42, 0, v42, vcc_lo
	v_cmp_ngt_f32_e32 vcc_lo, 0xc2b17218, v43
	s_delay_alu instid0(VALU_DEP_2) | instskip(NEXT) | instid1(VALU_DEP_1)
	v_cndmask_b32_e32 v42, 0x7f800000, v42, vcc_lo
	v_add_f32_e32 v42, 1.0, v42
	s_delay_alu instid0(VALU_DEP_1) | instskip(NEXT) | instid1(VALU_DEP_1)
	v_div_scale_f32 v43, null, v42, v42, 1.0
	v_rcp_f32_e32 v55, v43
	s_waitcnt_depctr 0xfff
	v_fma_f32 v56, -v43, v55, 1.0
	s_delay_alu instid0(VALU_DEP_1) | instskip(SKIP_1) | instid1(VALU_DEP_1)
	v_fmac_f32_e32 v55, v56, v55
	v_div_scale_f32 v56, vcc_lo, 1.0, v42, 1.0
	v_mul_f32_e32 v57, v56, v55
	s_delay_alu instid0(VALU_DEP_1) | instskip(NEXT) | instid1(VALU_DEP_1)
	v_fma_f32 v58, -v43, v57, v56
	v_fmac_f32_e32 v57, v58, v55
	s_delay_alu instid0(VALU_DEP_1) | instskip(NEXT) | instid1(VALU_DEP_1)
	v_fma_f32 v43, -v43, v57, v56
	v_div_fmas_f32 v43, v43, v55, v57
	s_delay_alu instid0(VALU_DEP_1)
	v_div_fixup_f32 v42, v43, v42, 1.0
.LBB9_17:
	s_or_b32 exec_lo, exec_lo, s2
	s_delay_alu instid0(SALU_CYCLE_1)
	s_mov_b32 s2, exec_lo
	v_cmpx_o_f32_e32 v36, v36
	s_cbranch_execz .LBB9_19
; %bb.18:
	v_mul_f32_e32 v41, 0xbfb8aa3b, v36
	v_cmp_nlt_f32_e32 vcc_lo, 0x42ce8ed0, v36
	s_delay_alu instid0(VALU_DEP_2) | instskip(SKIP_1) | instid1(VALU_DEP_2)
	v_rndne_f32_e32 v43, v41
	v_fma_f32 v55, 0xbfb8aa3b, v36, -v41
	v_sub_f32_e32 v41, v41, v43
	s_delay_alu instid0(VALU_DEP_2) | instskip(SKIP_1) | instid1(VALU_DEP_2)
	v_fmamk_f32 v55, v36, 0xb2a5705f, v55
	v_cvt_i32_f32_e32 v43, v43
	v_add_f32_e32 v41, v41, v55
	s_delay_alu instid0(VALU_DEP_1) | instskip(SKIP_2) | instid1(VALU_DEP_1)
	v_exp_f32_e32 v41, v41
	s_waitcnt_depctr 0xfff
	v_ldexp_f32 v41, v41, v43
	v_cndmask_b32_e32 v41, 0, v41, vcc_lo
	v_cmp_ngt_f32_e32 vcc_lo, 0xc2b17218, v36
	s_delay_alu instid0(VALU_DEP_2) | instskip(NEXT) | instid1(VALU_DEP_1)
	v_cndmask_b32_e32 v36, 0x7f800000, v41, vcc_lo
	v_add_f32_e32 v36, 1.0, v36
	s_delay_alu instid0(VALU_DEP_1) | instskip(NEXT) | instid1(VALU_DEP_1)
	v_div_scale_f32 v41, null, v36, v36, 1.0
	v_rcp_f32_e32 v43, v41
	s_waitcnt_depctr 0xfff
	v_fma_f32 v55, -v41, v43, 1.0
	s_delay_alu instid0(VALU_DEP_1) | instskip(SKIP_1) | instid1(VALU_DEP_1)
	v_fmac_f32_e32 v43, v55, v43
	v_div_scale_f32 v55, vcc_lo, 1.0, v36, 1.0
	v_mul_f32_e32 v56, v55, v43
	s_delay_alu instid0(VALU_DEP_1) | instskip(NEXT) | instid1(VALU_DEP_1)
	v_fma_f32 v57, -v41, v56, v55
	v_fmac_f32_e32 v56, v57, v43
	s_delay_alu instid0(VALU_DEP_1) | instskip(NEXT) | instid1(VALU_DEP_1)
	v_fma_f32 v41, -v41, v56, v55
	v_div_fmas_f32 v41, v41, v43, v56
	s_delay_alu instid0(VALU_DEP_1)
	v_div_fixup_f32 v41, v41, v36, 1.0
.LBB9_19:
	s_or_b32 exec_lo, exec_lo, s2
	v_dual_mov_b32 v36, 0 :: v_dual_mov_b32 v43, 0
	s_mov_b32 s2, exec_lo
	v_cmpx_o_f32_e32 v37, v37
	s_cbranch_execz .LBB9_21
; %bb.20:
	v_mul_f32_e32 v43, 0xbfb8aa3b, v37
	v_cmp_nlt_f32_e32 vcc_lo, 0x42ce8ed0, v37
	s_delay_alu instid0(VALU_DEP_2) | instskip(SKIP_1) | instid1(VALU_DEP_1)
	v_rndne_f32_e32 v55, v43
	v_fma_f32 v56, 0xbfb8aa3b, v37, -v43
	v_dual_sub_f32 v43, v43, v55 :: v_dual_fmamk_f32 v56, v37, 0xb2a5705f, v56
	v_cvt_i32_f32_e32 v55, v55
	s_delay_alu instid0(VALU_DEP_2) | instskip(NEXT) | instid1(VALU_DEP_1)
	v_add_f32_e32 v43, v43, v56
	v_exp_f32_e32 v43, v43
	s_waitcnt_depctr 0xfff
	v_ldexp_f32 v43, v43, v55
	s_delay_alu instid0(VALU_DEP_1) | instskip(SKIP_1) | instid1(VALU_DEP_2)
	v_cndmask_b32_e32 v43, 0, v43, vcc_lo
	v_cmp_ngt_f32_e32 vcc_lo, 0xc2b17218, v37
	v_cndmask_b32_e32 v37, 0x7f800000, v43, vcc_lo
	s_delay_alu instid0(VALU_DEP_1) | instskip(NEXT) | instid1(VALU_DEP_1)
	v_add_f32_e32 v37, 1.0, v37
	v_div_scale_f32 v43, null, v37, v37, 1.0
	s_delay_alu instid0(VALU_DEP_1) | instskip(SKIP_2) | instid1(VALU_DEP_1)
	v_rcp_f32_e32 v55, v43
	s_waitcnt_depctr 0xfff
	v_fma_f32 v56, -v43, v55, 1.0
	v_fmac_f32_e32 v55, v56, v55
	v_div_scale_f32 v56, vcc_lo, 1.0, v37, 1.0
	s_delay_alu instid0(VALU_DEP_1) | instskip(NEXT) | instid1(VALU_DEP_1)
	v_mul_f32_e32 v57, v56, v55
	v_fma_f32 v58, -v43, v57, v56
	s_delay_alu instid0(VALU_DEP_1) | instskip(NEXT) | instid1(VALU_DEP_1)
	v_fmac_f32_e32 v57, v58, v55
	v_fma_f32 v43, -v43, v57, v56
	s_delay_alu instid0(VALU_DEP_1) | instskip(NEXT) | instid1(VALU_DEP_1)
	v_div_fmas_f32 v43, v43, v55, v57
	v_div_fixup_f32 v43, v43, v37, 1.0
.LBB9_21:
	s_or_b32 exec_lo, exec_lo, s2
	s_delay_alu instid0(SALU_CYCLE_1)
	s_mov_b32 s2, exec_lo
	v_cmpx_o_f32_e32 v38, v38
	s_cbranch_execz .LBB9_23
; %bb.22:
	v_mul_f32_e32 v36, 0xbfb8aa3b, v38
	v_cmp_nlt_f32_e32 vcc_lo, 0x42ce8ed0, v38
	s_delay_alu instid0(VALU_DEP_2) | instskip(SKIP_1) | instid1(VALU_DEP_1)
	v_rndne_f32_e32 v37, v36
	v_fma_f32 v55, 0xbfb8aa3b, v38, -v36
	v_dual_sub_f32 v36, v36, v37 :: v_dual_fmamk_f32 v55, v38, 0xb2a5705f, v55
	v_cvt_i32_f32_e32 v37, v37
	s_delay_alu instid0(VALU_DEP_2) | instskip(NEXT) | instid1(VALU_DEP_1)
	v_add_f32_e32 v36, v36, v55
	v_exp_f32_e32 v36, v36
	s_waitcnt_depctr 0xfff
	v_ldexp_f32 v36, v36, v37
	s_delay_alu instid0(VALU_DEP_1) | instskip(SKIP_1) | instid1(VALU_DEP_2)
	v_cndmask_b32_e32 v36, 0, v36, vcc_lo
	v_cmp_ngt_f32_e32 vcc_lo, 0xc2b17218, v38
	v_cndmask_b32_e32 v36, 0x7f800000, v36, vcc_lo
	s_delay_alu instid0(VALU_DEP_1) | instskip(NEXT) | instid1(VALU_DEP_1)
	v_add_f32_e32 v36, 1.0, v36
	v_div_scale_f32 v37, null, v36, v36, 1.0
	s_delay_alu instid0(VALU_DEP_1) | instskip(SKIP_2) | instid1(VALU_DEP_1)
	v_rcp_f32_e32 v38, v37
	s_waitcnt_depctr 0xfff
	v_fma_f32 v55, -v37, v38, 1.0
	v_fmac_f32_e32 v38, v55, v38
	v_div_scale_f32 v55, vcc_lo, 1.0, v36, 1.0
	s_delay_alu instid0(VALU_DEP_1) | instskip(NEXT) | instid1(VALU_DEP_1)
	v_mul_f32_e32 v56, v55, v38
	v_fma_f32 v57, -v37, v56, v55
	s_delay_alu instid0(VALU_DEP_1) | instskip(NEXT) | instid1(VALU_DEP_1)
	v_fmac_f32_e32 v56, v57, v38
	v_fma_f32 v37, -v37, v56, v55
	s_delay_alu instid0(VALU_DEP_1) | instskip(NEXT) | instid1(VALU_DEP_1)
	v_div_fmas_f32 v37, v37, v38, v56
	v_div_fixup_f32 v36, v37, v36, 1.0
.LBB9_23:
	s_or_b32 exec_lo, exec_lo, s2
	v_dual_mov_b32 v37, 0 :: v_dual_mov_b32 v38, 0
	s_mov_b32 s2, exec_lo
	v_cmpx_o_f32_e32 v39, v39
	s_cbranch_execz .LBB9_25
; %bb.24:
	v_mul_f32_e32 v38, 0xbfb8aa3b, v39
	v_cmp_nlt_f32_e32 vcc_lo, 0x42ce8ed0, v39
	s_delay_alu instid0(VALU_DEP_2) | instskip(SKIP_1) | instid1(VALU_DEP_2)
	v_rndne_f32_e32 v55, v38
	v_fma_f32 v56, 0xbfb8aa3b, v39, -v38
	v_sub_f32_e32 v38, v38, v55
	s_delay_alu instid0(VALU_DEP_2) | instskip(SKIP_1) | instid1(VALU_DEP_2)
	v_fmamk_f32 v56, v39, 0xb2a5705f, v56
	v_cvt_i32_f32_e32 v55, v55
	v_add_f32_e32 v38, v38, v56
	s_delay_alu instid0(VALU_DEP_1) | instskip(SKIP_2) | instid1(VALU_DEP_1)
	v_exp_f32_e32 v38, v38
	s_waitcnt_depctr 0xfff
	v_ldexp_f32 v38, v38, v55
	v_cndmask_b32_e32 v38, 0, v38, vcc_lo
	v_cmp_ngt_f32_e32 vcc_lo, 0xc2b17218, v39
	s_delay_alu instid0(VALU_DEP_2) | instskip(NEXT) | instid1(VALU_DEP_1)
	v_cndmask_b32_e32 v38, 0x7f800000, v38, vcc_lo
	v_add_f32_e32 v38, 1.0, v38
	s_delay_alu instid0(VALU_DEP_1) | instskip(NEXT) | instid1(VALU_DEP_1)
	v_div_scale_f32 v39, null, v38, v38, 1.0
	v_rcp_f32_e32 v55, v39
	s_waitcnt_depctr 0xfff
	v_fma_f32 v56, -v39, v55, 1.0
	s_delay_alu instid0(VALU_DEP_1) | instskip(SKIP_1) | instid1(VALU_DEP_1)
	v_fmac_f32_e32 v55, v56, v55
	v_div_scale_f32 v56, vcc_lo, 1.0, v38, 1.0
	v_mul_f32_e32 v57, v56, v55
	s_delay_alu instid0(VALU_DEP_1) | instskip(NEXT) | instid1(VALU_DEP_1)
	v_fma_f32 v58, -v39, v57, v56
	v_fmac_f32_e32 v57, v58, v55
	s_delay_alu instid0(VALU_DEP_1) | instskip(NEXT) | instid1(VALU_DEP_1)
	v_fma_f32 v39, -v39, v57, v56
	v_div_fmas_f32 v39, v39, v55, v57
	s_delay_alu instid0(VALU_DEP_1)
	v_div_fixup_f32 v38, v39, v38, 1.0
.LBB9_25:
	s_or_b32 exec_lo, exec_lo, s2
	s_delay_alu instid0(SALU_CYCLE_1)
	s_mov_b32 s2, exec_lo
	v_cmpx_o_f32_e32 v32, v32
	s_cbranch_execz .LBB9_27
; %bb.26:
	v_mul_f32_e32 v37, 0xbfb8aa3b, v32
	v_cmp_nlt_f32_e32 vcc_lo, 0x42ce8ed0, v32
	s_delay_alu instid0(VALU_DEP_2) | instskip(SKIP_1) | instid1(VALU_DEP_2)
	v_rndne_f32_e32 v39, v37
	v_fma_f32 v55, 0xbfb8aa3b, v32, -v37
	v_sub_f32_e32 v37, v37, v39
	s_delay_alu instid0(VALU_DEP_2) | instskip(SKIP_1) | instid1(VALU_DEP_2)
	v_fmamk_f32 v55, v32, 0xb2a5705f, v55
	v_cvt_i32_f32_e32 v39, v39
	v_add_f32_e32 v37, v37, v55
	s_delay_alu instid0(VALU_DEP_1) | instskip(SKIP_2) | instid1(VALU_DEP_1)
	v_exp_f32_e32 v37, v37
	s_waitcnt_depctr 0xfff
	v_ldexp_f32 v37, v37, v39
	v_cndmask_b32_e32 v37, 0, v37, vcc_lo
	v_cmp_ngt_f32_e32 vcc_lo, 0xc2b17218, v32
	s_delay_alu instid0(VALU_DEP_2) | instskip(NEXT) | instid1(VALU_DEP_1)
	v_cndmask_b32_e32 v32, 0x7f800000, v37, vcc_lo
	v_add_f32_e32 v32, 1.0, v32
	s_delay_alu instid0(VALU_DEP_1) | instskip(NEXT) | instid1(VALU_DEP_1)
	v_div_scale_f32 v37, null, v32, v32, 1.0
	v_rcp_f32_e32 v39, v37
	s_waitcnt_depctr 0xfff
	v_fma_f32 v55, -v37, v39, 1.0
	s_delay_alu instid0(VALU_DEP_1) | instskip(SKIP_1) | instid1(VALU_DEP_1)
	v_fmac_f32_e32 v39, v55, v39
	v_div_scale_f32 v55, vcc_lo, 1.0, v32, 1.0
	v_mul_f32_e32 v56, v55, v39
	s_delay_alu instid0(VALU_DEP_1) | instskip(NEXT) | instid1(VALU_DEP_1)
	v_fma_f32 v57, -v37, v56, v55
	v_fmac_f32_e32 v56, v57, v39
	s_delay_alu instid0(VALU_DEP_1) | instskip(NEXT) | instid1(VALU_DEP_1)
	v_fma_f32 v37, -v37, v56, v55
	v_div_fmas_f32 v37, v37, v39, v56
	s_delay_alu instid0(VALU_DEP_1)
	v_div_fixup_f32 v37, v37, v32, 1.0
.LBB9_27:
	s_or_b32 exec_lo, exec_lo, s2
	v_dual_mov_b32 v32, 0 :: v_dual_mov_b32 v39, 0
	s_mov_b32 s2, exec_lo
	v_cmpx_o_f32_e32 v33, v33
	s_cbranch_execz .LBB9_29
; %bb.28:
	v_mul_f32_e32 v39, 0xbfb8aa3b, v33
	v_cmp_nlt_f32_e32 vcc_lo, 0x42ce8ed0, v33
	s_delay_alu instid0(VALU_DEP_2) | instskip(SKIP_1) | instid1(VALU_DEP_1)
	v_rndne_f32_e32 v55, v39
	v_fma_f32 v56, 0xbfb8aa3b, v33, -v39
	v_dual_sub_f32 v39, v39, v55 :: v_dual_fmamk_f32 v56, v33, 0xb2a5705f, v56
	v_cvt_i32_f32_e32 v55, v55
	s_delay_alu instid0(VALU_DEP_2) | instskip(NEXT) | instid1(VALU_DEP_1)
	v_add_f32_e32 v39, v39, v56
	v_exp_f32_e32 v39, v39
	s_waitcnt_depctr 0xfff
	v_ldexp_f32 v39, v39, v55
	s_delay_alu instid0(VALU_DEP_1) | instskip(SKIP_1) | instid1(VALU_DEP_2)
	v_cndmask_b32_e32 v39, 0, v39, vcc_lo
	v_cmp_ngt_f32_e32 vcc_lo, 0xc2b17218, v33
	v_cndmask_b32_e32 v33, 0x7f800000, v39, vcc_lo
	s_delay_alu instid0(VALU_DEP_1) | instskip(NEXT) | instid1(VALU_DEP_1)
	v_add_f32_e32 v33, 1.0, v33
	v_div_scale_f32 v39, null, v33, v33, 1.0
	s_delay_alu instid0(VALU_DEP_1) | instskip(SKIP_2) | instid1(VALU_DEP_1)
	v_rcp_f32_e32 v55, v39
	s_waitcnt_depctr 0xfff
	v_fma_f32 v56, -v39, v55, 1.0
	v_fmac_f32_e32 v55, v56, v55
	v_div_scale_f32 v56, vcc_lo, 1.0, v33, 1.0
	s_delay_alu instid0(VALU_DEP_1) | instskip(NEXT) | instid1(VALU_DEP_1)
	v_mul_f32_e32 v57, v56, v55
	v_fma_f32 v58, -v39, v57, v56
	s_delay_alu instid0(VALU_DEP_1) | instskip(NEXT) | instid1(VALU_DEP_1)
	v_fmac_f32_e32 v57, v58, v55
	v_fma_f32 v39, -v39, v57, v56
	s_delay_alu instid0(VALU_DEP_1) | instskip(NEXT) | instid1(VALU_DEP_1)
	v_div_fmas_f32 v39, v39, v55, v57
	v_div_fixup_f32 v39, v39, v33, 1.0
.LBB9_29:
	s_or_b32 exec_lo, exec_lo, s2
	s_delay_alu instid0(SALU_CYCLE_1)
	s_mov_b32 s2, exec_lo
	v_cmpx_o_f32_e32 v34, v34
	s_cbranch_execz .LBB9_31
; %bb.30:
	v_mul_f32_e32 v32, 0xbfb8aa3b, v34
	v_cmp_nlt_f32_e32 vcc_lo, 0x42ce8ed0, v34
	s_delay_alu instid0(VALU_DEP_2) | instskip(SKIP_1) | instid1(VALU_DEP_1)
	v_rndne_f32_e32 v33, v32
	v_fma_f32 v55, 0xbfb8aa3b, v34, -v32
	v_dual_sub_f32 v32, v32, v33 :: v_dual_fmamk_f32 v55, v34, 0xb2a5705f, v55
	v_cvt_i32_f32_e32 v33, v33
	s_delay_alu instid0(VALU_DEP_2) | instskip(NEXT) | instid1(VALU_DEP_1)
	v_add_f32_e32 v32, v32, v55
	v_exp_f32_e32 v32, v32
	s_waitcnt_depctr 0xfff
	v_ldexp_f32 v32, v32, v33
	s_delay_alu instid0(VALU_DEP_1) | instskip(SKIP_1) | instid1(VALU_DEP_2)
	v_cndmask_b32_e32 v32, 0, v32, vcc_lo
	v_cmp_ngt_f32_e32 vcc_lo, 0xc2b17218, v34
	v_cndmask_b32_e32 v32, 0x7f800000, v32, vcc_lo
	s_delay_alu instid0(VALU_DEP_1) | instskip(NEXT) | instid1(VALU_DEP_1)
	v_add_f32_e32 v32, 1.0, v32
	v_div_scale_f32 v33, null, v32, v32, 1.0
	s_delay_alu instid0(VALU_DEP_1) | instskip(SKIP_2) | instid1(VALU_DEP_1)
	v_rcp_f32_e32 v34, v33
	s_waitcnt_depctr 0xfff
	v_fma_f32 v55, -v33, v34, 1.0
	v_fmac_f32_e32 v34, v55, v34
	v_div_scale_f32 v55, vcc_lo, 1.0, v32, 1.0
	s_delay_alu instid0(VALU_DEP_1) | instskip(NEXT) | instid1(VALU_DEP_1)
	v_mul_f32_e32 v56, v55, v34
	v_fma_f32 v57, -v33, v56, v55
	s_delay_alu instid0(VALU_DEP_1) | instskip(NEXT) | instid1(VALU_DEP_1)
	v_fmac_f32_e32 v56, v57, v34
	v_fma_f32 v33, -v33, v56, v55
	s_delay_alu instid0(VALU_DEP_1) | instskip(NEXT) | instid1(VALU_DEP_1)
	v_div_fmas_f32 v33, v33, v34, v56
	v_div_fixup_f32 v32, v33, v32, 1.0
.LBB9_31:
	s_or_b32 exec_lo, exec_lo, s2
	v_dual_mov_b32 v33, 0 :: v_dual_mov_b32 v34, 0
	s_mov_b32 s2, exec_lo
	v_cmpx_o_f32_e32 v35, v35
	s_cbranch_execz .LBB9_33
; %bb.32:
	v_mul_f32_e32 v34, 0xbfb8aa3b, v35
	v_cmp_nlt_f32_e32 vcc_lo, 0x42ce8ed0, v35
	s_delay_alu instid0(VALU_DEP_2) | instskip(SKIP_1) | instid1(VALU_DEP_2)
	v_rndne_f32_e32 v55, v34
	v_fma_f32 v56, 0xbfb8aa3b, v35, -v34
	v_sub_f32_e32 v34, v34, v55
	s_delay_alu instid0(VALU_DEP_2) | instskip(SKIP_1) | instid1(VALU_DEP_2)
	v_fmamk_f32 v56, v35, 0xb2a5705f, v56
	v_cvt_i32_f32_e32 v55, v55
	v_add_f32_e32 v34, v34, v56
	s_delay_alu instid0(VALU_DEP_1) | instskip(SKIP_2) | instid1(VALU_DEP_1)
	v_exp_f32_e32 v34, v34
	s_waitcnt_depctr 0xfff
	v_ldexp_f32 v34, v34, v55
	v_cndmask_b32_e32 v34, 0, v34, vcc_lo
	v_cmp_ngt_f32_e32 vcc_lo, 0xc2b17218, v35
	s_delay_alu instid0(VALU_DEP_2) | instskip(NEXT) | instid1(VALU_DEP_1)
	v_cndmask_b32_e32 v34, 0x7f800000, v34, vcc_lo
	v_add_f32_e32 v34, 1.0, v34
	s_delay_alu instid0(VALU_DEP_1) | instskip(NEXT) | instid1(VALU_DEP_1)
	v_div_scale_f32 v35, null, v34, v34, 1.0
	v_rcp_f32_e32 v55, v35
	s_waitcnt_depctr 0xfff
	v_fma_f32 v56, -v35, v55, 1.0
	s_delay_alu instid0(VALU_DEP_1) | instskip(SKIP_1) | instid1(VALU_DEP_1)
	v_fmac_f32_e32 v55, v56, v55
	v_div_scale_f32 v56, vcc_lo, 1.0, v34, 1.0
	v_mul_f32_e32 v57, v56, v55
	s_delay_alu instid0(VALU_DEP_1) | instskip(NEXT) | instid1(VALU_DEP_1)
	v_fma_f32 v58, -v35, v57, v56
	v_fmac_f32_e32 v57, v58, v55
	s_delay_alu instid0(VALU_DEP_1) | instskip(NEXT) | instid1(VALU_DEP_1)
	v_fma_f32 v35, -v35, v57, v56
	v_div_fmas_f32 v35, v35, v55, v57
	s_delay_alu instid0(VALU_DEP_1)
	v_div_fixup_f32 v34, v35, v34, 1.0
.LBB9_33:
	s_or_b32 exec_lo, exec_lo, s2
	s_delay_alu instid0(SALU_CYCLE_1)
	s_mov_b32 s2, exec_lo
	v_cmpx_o_f32_e32 v28, v28
	s_cbranch_execz .LBB9_35
; %bb.34:
	v_mul_f32_e32 v33, 0xbfb8aa3b, v28
	v_cmp_nlt_f32_e32 vcc_lo, 0x42ce8ed0, v28
	s_delay_alu instid0(VALU_DEP_2) | instskip(SKIP_1) | instid1(VALU_DEP_2)
	v_rndne_f32_e32 v35, v33
	v_fma_f32 v55, 0xbfb8aa3b, v28, -v33
	v_sub_f32_e32 v33, v33, v35
	s_delay_alu instid0(VALU_DEP_2) | instskip(SKIP_1) | instid1(VALU_DEP_2)
	v_fmamk_f32 v55, v28, 0xb2a5705f, v55
	v_cvt_i32_f32_e32 v35, v35
	v_add_f32_e32 v33, v33, v55
	s_delay_alu instid0(VALU_DEP_1) | instskip(SKIP_2) | instid1(VALU_DEP_1)
	v_exp_f32_e32 v33, v33
	s_waitcnt_depctr 0xfff
	v_ldexp_f32 v33, v33, v35
	v_cndmask_b32_e32 v33, 0, v33, vcc_lo
	v_cmp_ngt_f32_e32 vcc_lo, 0xc2b17218, v28
	s_delay_alu instid0(VALU_DEP_2) | instskip(NEXT) | instid1(VALU_DEP_1)
	v_cndmask_b32_e32 v28, 0x7f800000, v33, vcc_lo
	v_add_f32_e32 v28, 1.0, v28
	s_delay_alu instid0(VALU_DEP_1) | instskip(NEXT) | instid1(VALU_DEP_1)
	v_div_scale_f32 v33, null, v28, v28, 1.0
	v_rcp_f32_e32 v35, v33
	s_waitcnt_depctr 0xfff
	v_fma_f32 v55, -v33, v35, 1.0
	s_delay_alu instid0(VALU_DEP_1) | instskip(SKIP_1) | instid1(VALU_DEP_1)
	v_fmac_f32_e32 v35, v55, v35
	v_div_scale_f32 v55, vcc_lo, 1.0, v28, 1.0
	v_mul_f32_e32 v56, v55, v35
	s_delay_alu instid0(VALU_DEP_1) | instskip(NEXT) | instid1(VALU_DEP_1)
	v_fma_f32 v57, -v33, v56, v55
	v_fmac_f32_e32 v56, v57, v35
	s_delay_alu instid0(VALU_DEP_1) | instskip(NEXT) | instid1(VALU_DEP_1)
	v_fma_f32 v33, -v33, v56, v55
	v_div_fmas_f32 v33, v33, v35, v56
	s_delay_alu instid0(VALU_DEP_1)
	v_div_fixup_f32 v33, v33, v28, 1.0
.LBB9_35:
	s_or_b32 exec_lo, exec_lo, s2
	v_dual_mov_b32 v28, 0 :: v_dual_mov_b32 v35, 0
	s_mov_b32 s2, exec_lo
	v_cmpx_o_f32_e32 v29, v29
	s_cbranch_execz .LBB9_37
; %bb.36:
	v_mul_f32_e32 v35, 0xbfb8aa3b, v29
	v_cmp_nlt_f32_e32 vcc_lo, 0x42ce8ed0, v29
	s_delay_alu instid0(VALU_DEP_2) | instskip(SKIP_1) | instid1(VALU_DEP_1)
	v_rndne_f32_e32 v55, v35
	v_fma_f32 v56, 0xbfb8aa3b, v29, -v35
	v_dual_sub_f32 v35, v35, v55 :: v_dual_fmamk_f32 v56, v29, 0xb2a5705f, v56
	v_cvt_i32_f32_e32 v55, v55
	s_delay_alu instid0(VALU_DEP_2) | instskip(NEXT) | instid1(VALU_DEP_1)
	v_add_f32_e32 v35, v35, v56
	v_exp_f32_e32 v35, v35
	s_waitcnt_depctr 0xfff
	v_ldexp_f32 v35, v35, v55
	s_delay_alu instid0(VALU_DEP_1) | instskip(SKIP_1) | instid1(VALU_DEP_2)
	v_cndmask_b32_e32 v35, 0, v35, vcc_lo
	v_cmp_ngt_f32_e32 vcc_lo, 0xc2b17218, v29
	v_cndmask_b32_e32 v29, 0x7f800000, v35, vcc_lo
	s_delay_alu instid0(VALU_DEP_1) | instskip(NEXT) | instid1(VALU_DEP_1)
	v_add_f32_e32 v29, 1.0, v29
	v_div_scale_f32 v35, null, v29, v29, 1.0
	s_delay_alu instid0(VALU_DEP_1) | instskip(SKIP_2) | instid1(VALU_DEP_1)
	v_rcp_f32_e32 v55, v35
	s_waitcnt_depctr 0xfff
	v_fma_f32 v56, -v35, v55, 1.0
	v_fmac_f32_e32 v55, v56, v55
	v_div_scale_f32 v56, vcc_lo, 1.0, v29, 1.0
	s_delay_alu instid0(VALU_DEP_1) | instskip(NEXT) | instid1(VALU_DEP_1)
	v_mul_f32_e32 v57, v56, v55
	v_fma_f32 v58, -v35, v57, v56
	s_delay_alu instid0(VALU_DEP_1) | instskip(NEXT) | instid1(VALU_DEP_1)
	v_fmac_f32_e32 v57, v58, v55
	v_fma_f32 v35, -v35, v57, v56
	s_delay_alu instid0(VALU_DEP_1) | instskip(NEXT) | instid1(VALU_DEP_1)
	v_div_fmas_f32 v35, v35, v55, v57
	v_div_fixup_f32 v35, v35, v29, 1.0
.LBB9_37:
	s_or_b32 exec_lo, exec_lo, s2
	s_delay_alu instid0(SALU_CYCLE_1)
	s_mov_b32 s2, exec_lo
	v_cmpx_o_f32_e32 v30, v30
	s_cbranch_execz .LBB9_39
; %bb.38:
	v_mul_f32_e32 v28, 0xbfb8aa3b, v30
	v_cmp_nlt_f32_e32 vcc_lo, 0x42ce8ed0, v30
	s_delay_alu instid0(VALU_DEP_2) | instskip(SKIP_1) | instid1(VALU_DEP_1)
	v_rndne_f32_e32 v29, v28
	v_fma_f32 v55, 0xbfb8aa3b, v30, -v28
	v_dual_sub_f32 v28, v28, v29 :: v_dual_fmamk_f32 v55, v30, 0xb2a5705f, v55
	v_cvt_i32_f32_e32 v29, v29
	s_delay_alu instid0(VALU_DEP_2) | instskip(NEXT) | instid1(VALU_DEP_1)
	v_add_f32_e32 v28, v28, v55
	v_exp_f32_e32 v28, v28
	s_waitcnt_depctr 0xfff
	v_ldexp_f32 v28, v28, v29
	s_delay_alu instid0(VALU_DEP_1) | instskip(SKIP_1) | instid1(VALU_DEP_2)
	v_cndmask_b32_e32 v28, 0, v28, vcc_lo
	v_cmp_ngt_f32_e32 vcc_lo, 0xc2b17218, v30
	v_cndmask_b32_e32 v28, 0x7f800000, v28, vcc_lo
	s_delay_alu instid0(VALU_DEP_1) | instskip(NEXT) | instid1(VALU_DEP_1)
	v_add_f32_e32 v28, 1.0, v28
	v_div_scale_f32 v29, null, v28, v28, 1.0
	s_delay_alu instid0(VALU_DEP_1) | instskip(SKIP_2) | instid1(VALU_DEP_1)
	v_rcp_f32_e32 v30, v29
	s_waitcnt_depctr 0xfff
	v_fma_f32 v55, -v29, v30, 1.0
	v_fmac_f32_e32 v30, v55, v30
	v_div_scale_f32 v55, vcc_lo, 1.0, v28, 1.0
	s_delay_alu instid0(VALU_DEP_1) | instskip(NEXT) | instid1(VALU_DEP_1)
	v_mul_f32_e32 v56, v55, v30
	v_fma_f32 v57, -v29, v56, v55
	s_delay_alu instid0(VALU_DEP_1) | instskip(NEXT) | instid1(VALU_DEP_1)
	v_fmac_f32_e32 v56, v57, v30
	v_fma_f32 v29, -v29, v56, v55
	s_delay_alu instid0(VALU_DEP_1) | instskip(NEXT) | instid1(VALU_DEP_1)
	v_div_fmas_f32 v29, v29, v30, v56
	v_div_fixup_f32 v28, v29, v28, 1.0
.LBB9_39:
	s_or_b32 exec_lo, exec_lo, s2
	v_dual_mov_b32 v29, 0 :: v_dual_mov_b32 v30, 0
	s_mov_b32 s2, exec_lo
	v_cmpx_o_f32_e32 v31, v31
	s_cbranch_execz .LBB9_41
; %bb.40:
	v_mul_f32_e32 v30, 0xbfb8aa3b, v31
	v_cmp_nlt_f32_e32 vcc_lo, 0x42ce8ed0, v31
	s_delay_alu instid0(VALU_DEP_2) | instskip(SKIP_1) | instid1(VALU_DEP_2)
	v_rndne_f32_e32 v55, v30
	v_fma_f32 v56, 0xbfb8aa3b, v31, -v30
	v_sub_f32_e32 v30, v30, v55
	s_delay_alu instid0(VALU_DEP_2) | instskip(SKIP_1) | instid1(VALU_DEP_2)
	v_fmamk_f32 v56, v31, 0xb2a5705f, v56
	v_cvt_i32_f32_e32 v55, v55
	v_add_f32_e32 v30, v30, v56
	s_delay_alu instid0(VALU_DEP_1) | instskip(SKIP_2) | instid1(VALU_DEP_1)
	v_exp_f32_e32 v30, v30
	s_waitcnt_depctr 0xfff
	v_ldexp_f32 v30, v30, v55
	v_cndmask_b32_e32 v30, 0, v30, vcc_lo
	v_cmp_ngt_f32_e32 vcc_lo, 0xc2b17218, v31
	s_delay_alu instid0(VALU_DEP_2) | instskip(NEXT) | instid1(VALU_DEP_1)
	v_cndmask_b32_e32 v30, 0x7f800000, v30, vcc_lo
	v_add_f32_e32 v30, 1.0, v30
	s_delay_alu instid0(VALU_DEP_1) | instskip(NEXT) | instid1(VALU_DEP_1)
	v_div_scale_f32 v31, null, v30, v30, 1.0
	v_rcp_f32_e32 v55, v31
	s_waitcnt_depctr 0xfff
	v_fma_f32 v56, -v31, v55, 1.0
	s_delay_alu instid0(VALU_DEP_1) | instskip(SKIP_1) | instid1(VALU_DEP_1)
	v_fmac_f32_e32 v55, v56, v55
	v_div_scale_f32 v56, vcc_lo, 1.0, v30, 1.0
	v_mul_f32_e32 v57, v56, v55
	s_delay_alu instid0(VALU_DEP_1) | instskip(NEXT) | instid1(VALU_DEP_1)
	v_fma_f32 v58, -v31, v57, v56
	v_fmac_f32_e32 v57, v58, v55
	s_delay_alu instid0(VALU_DEP_1) | instskip(NEXT) | instid1(VALU_DEP_1)
	v_fma_f32 v31, -v31, v57, v56
	v_div_fmas_f32 v31, v31, v55, v57
	s_delay_alu instid0(VALU_DEP_1)
	v_div_fixup_f32 v30, v31, v30, 1.0
.LBB9_41:
	s_or_b32 exec_lo, exec_lo, s2
	s_delay_alu instid0(SALU_CYCLE_1)
	s_mov_b32 s2, exec_lo
	v_cmpx_o_f32_e32 v24, v24
	s_cbranch_execz .LBB9_43
; %bb.42:
	v_mul_f32_e32 v29, 0xbfb8aa3b, v24
	v_cmp_nlt_f32_e32 vcc_lo, 0x42ce8ed0, v24
	s_delay_alu instid0(VALU_DEP_2) | instskip(SKIP_1) | instid1(VALU_DEP_2)
	v_rndne_f32_e32 v31, v29
	v_fma_f32 v55, 0xbfb8aa3b, v24, -v29
	v_sub_f32_e32 v29, v29, v31
	s_delay_alu instid0(VALU_DEP_2) | instskip(SKIP_1) | instid1(VALU_DEP_2)
	v_fmamk_f32 v55, v24, 0xb2a5705f, v55
	v_cvt_i32_f32_e32 v31, v31
	v_add_f32_e32 v29, v29, v55
	s_delay_alu instid0(VALU_DEP_1) | instskip(SKIP_2) | instid1(VALU_DEP_1)
	v_exp_f32_e32 v29, v29
	s_waitcnt_depctr 0xfff
	v_ldexp_f32 v29, v29, v31
	v_cndmask_b32_e32 v29, 0, v29, vcc_lo
	v_cmp_ngt_f32_e32 vcc_lo, 0xc2b17218, v24
	s_delay_alu instid0(VALU_DEP_2) | instskip(NEXT) | instid1(VALU_DEP_1)
	v_cndmask_b32_e32 v24, 0x7f800000, v29, vcc_lo
	v_add_f32_e32 v24, 1.0, v24
	s_delay_alu instid0(VALU_DEP_1) | instskip(NEXT) | instid1(VALU_DEP_1)
	v_div_scale_f32 v29, null, v24, v24, 1.0
	v_rcp_f32_e32 v31, v29
	s_waitcnt_depctr 0xfff
	v_fma_f32 v55, -v29, v31, 1.0
	s_delay_alu instid0(VALU_DEP_1) | instskip(SKIP_1) | instid1(VALU_DEP_1)
	v_fmac_f32_e32 v31, v55, v31
	v_div_scale_f32 v55, vcc_lo, 1.0, v24, 1.0
	v_mul_f32_e32 v56, v55, v31
	s_delay_alu instid0(VALU_DEP_1) | instskip(NEXT) | instid1(VALU_DEP_1)
	v_fma_f32 v57, -v29, v56, v55
	v_fmac_f32_e32 v56, v57, v31
	s_delay_alu instid0(VALU_DEP_1) | instskip(NEXT) | instid1(VALU_DEP_1)
	v_fma_f32 v29, -v29, v56, v55
	v_div_fmas_f32 v29, v29, v31, v56
	s_delay_alu instid0(VALU_DEP_1)
	v_div_fixup_f32 v29, v29, v24, 1.0
.LBB9_43:
	s_or_b32 exec_lo, exec_lo, s2
	v_dual_mov_b32 v24, 0 :: v_dual_mov_b32 v31, 0
	s_mov_b32 s2, exec_lo
	v_cmpx_o_f32_e32 v25, v25
	s_cbranch_execz .LBB9_45
; %bb.44:
	v_mul_f32_e32 v31, 0xbfb8aa3b, v25
	v_cmp_nlt_f32_e32 vcc_lo, 0x42ce8ed0, v25
	s_delay_alu instid0(VALU_DEP_2) | instskip(SKIP_1) | instid1(VALU_DEP_1)
	v_rndne_f32_e32 v55, v31
	v_fma_f32 v56, 0xbfb8aa3b, v25, -v31
	v_dual_sub_f32 v31, v31, v55 :: v_dual_fmamk_f32 v56, v25, 0xb2a5705f, v56
	v_cvt_i32_f32_e32 v55, v55
	s_delay_alu instid0(VALU_DEP_2) | instskip(NEXT) | instid1(VALU_DEP_1)
	v_add_f32_e32 v31, v31, v56
	v_exp_f32_e32 v31, v31
	s_waitcnt_depctr 0xfff
	v_ldexp_f32 v31, v31, v55
	s_delay_alu instid0(VALU_DEP_1) | instskip(SKIP_1) | instid1(VALU_DEP_2)
	v_cndmask_b32_e32 v31, 0, v31, vcc_lo
	v_cmp_ngt_f32_e32 vcc_lo, 0xc2b17218, v25
	v_cndmask_b32_e32 v25, 0x7f800000, v31, vcc_lo
	s_delay_alu instid0(VALU_DEP_1) | instskip(NEXT) | instid1(VALU_DEP_1)
	v_add_f32_e32 v25, 1.0, v25
	v_div_scale_f32 v31, null, v25, v25, 1.0
	s_delay_alu instid0(VALU_DEP_1) | instskip(SKIP_2) | instid1(VALU_DEP_1)
	v_rcp_f32_e32 v55, v31
	s_waitcnt_depctr 0xfff
	v_fma_f32 v56, -v31, v55, 1.0
	v_fmac_f32_e32 v55, v56, v55
	v_div_scale_f32 v56, vcc_lo, 1.0, v25, 1.0
	s_delay_alu instid0(VALU_DEP_1) | instskip(NEXT) | instid1(VALU_DEP_1)
	v_mul_f32_e32 v57, v56, v55
	v_fma_f32 v58, -v31, v57, v56
	s_delay_alu instid0(VALU_DEP_1) | instskip(NEXT) | instid1(VALU_DEP_1)
	v_fmac_f32_e32 v57, v58, v55
	v_fma_f32 v31, -v31, v57, v56
	s_delay_alu instid0(VALU_DEP_1) | instskip(NEXT) | instid1(VALU_DEP_1)
	v_div_fmas_f32 v31, v31, v55, v57
	v_div_fixup_f32 v31, v31, v25, 1.0
.LBB9_45:
	s_or_b32 exec_lo, exec_lo, s2
	s_delay_alu instid0(SALU_CYCLE_1)
	s_mov_b32 s2, exec_lo
	v_cmpx_o_f32_e32 v26, v26
	s_cbranch_execz .LBB9_47
; %bb.46:
	v_mul_f32_e32 v24, 0xbfb8aa3b, v26
	v_cmp_nlt_f32_e32 vcc_lo, 0x42ce8ed0, v26
	s_delay_alu instid0(VALU_DEP_2) | instskip(SKIP_1) | instid1(VALU_DEP_1)
	v_rndne_f32_e32 v25, v24
	v_fma_f32 v55, 0xbfb8aa3b, v26, -v24
	v_dual_sub_f32 v24, v24, v25 :: v_dual_fmamk_f32 v55, v26, 0xb2a5705f, v55
	v_cvt_i32_f32_e32 v25, v25
	s_delay_alu instid0(VALU_DEP_2) | instskip(NEXT) | instid1(VALU_DEP_1)
	v_add_f32_e32 v24, v24, v55
	v_exp_f32_e32 v24, v24
	s_waitcnt_depctr 0xfff
	v_ldexp_f32 v24, v24, v25
	s_delay_alu instid0(VALU_DEP_1) | instskip(SKIP_1) | instid1(VALU_DEP_2)
	v_cndmask_b32_e32 v24, 0, v24, vcc_lo
	v_cmp_ngt_f32_e32 vcc_lo, 0xc2b17218, v26
	v_cndmask_b32_e32 v24, 0x7f800000, v24, vcc_lo
	s_delay_alu instid0(VALU_DEP_1) | instskip(NEXT) | instid1(VALU_DEP_1)
	v_add_f32_e32 v24, 1.0, v24
	v_div_scale_f32 v25, null, v24, v24, 1.0
	s_delay_alu instid0(VALU_DEP_1) | instskip(SKIP_2) | instid1(VALU_DEP_1)
	v_rcp_f32_e32 v26, v25
	s_waitcnt_depctr 0xfff
	v_fma_f32 v55, -v25, v26, 1.0
	v_fmac_f32_e32 v26, v55, v26
	v_div_scale_f32 v55, vcc_lo, 1.0, v24, 1.0
	s_delay_alu instid0(VALU_DEP_1) | instskip(NEXT) | instid1(VALU_DEP_1)
	v_mul_f32_e32 v56, v55, v26
	v_fma_f32 v57, -v25, v56, v55
	s_delay_alu instid0(VALU_DEP_1) | instskip(NEXT) | instid1(VALU_DEP_1)
	v_fmac_f32_e32 v56, v57, v26
	v_fma_f32 v25, -v25, v56, v55
	s_delay_alu instid0(VALU_DEP_1) | instskip(NEXT) | instid1(VALU_DEP_1)
	v_div_fmas_f32 v25, v25, v26, v56
	v_div_fixup_f32 v24, v25, v24, 1.0
.LBB9_47:
	s_or_b32 exec_lo, exec_lo, s2
	v_mov_b32_e32 v25, 0
	s_mov_b32 s2, exec_lo
	v_cmpx_o_f32_e32 v27, v27
	s_cbranch_execz .LBB9_49
; %bb.48:
	v_mul_f32_e32 v25, 0xbfb8aa3b, v27
	v_cmp_nlt_f32_e32 vcc_lo, 0x42ce8ed0, v27
	s_delay_alu instid0(VALU_DEP_2) | instskip(SKIP_1) | instid1(VALU_DEP_2)
	v_rndne_f32_e32 v26, v25
	v_fma_f32 v55, 0xbfb8aa3b, v27, -v25
	v_sub_f32_e32 v25, v25, v26
	s_delay_alu instid0(VALU_DEP_2) | instskip(SKIP_1) | instid1(VALU_DEP_2)
	v_fmamk_f32 v55, v27, 0xb2a5705f, v55
	v_cvt_i32_f32_e32 v26, v26
	v_add_f32_e32 v25, v25, v55
	s_delay_alu instid0(VALU_DEP_1) | instskip(SKIP_2) | instid1(VALU_DEP_1)
	v_exp_f32_e32 v25, v25
	s_waitcnt_depctr 0xfff
	v_ldexp_f32 v25, v25, v26
	v_cndmask_b32_e32 v25, 0, v25, vcc_lo
	v_cmp_ngt_f32_e32 vcc_lo, 0xc2b17218, v27
	s_delay_alu instid0(VALU_DEP_2) | instskip(NEXT) | instid1(VALU_DEP_1)
	v_cndmask_b32_e32 v25, 0x7f800000, v25, vcc_lo
	v_add_f32_e32 v25, 1.0, v25
	s_delay_alu instid0(VALU_DEP_1) | instskip(NEXT) | instid1(VALU_DEP_1)
	v_div_scale_f32 v26, null, v25, v25, 1.0
	v_rcp_f32_e32 v27, v26
	s_waitcnt_depctr 0xfff
	v_fma_f32 v55, -v26, v27, 1.0
	s_delay_alu instid0(VALU_DEP_1) | instskip(SKIP_1) | instid1(VALU_DEP_1)
	v_fmac_f32_e32 v27, v55, v27
	v_div_scale_f32 v55, vcc_lo, 1.0, v25, 1.0
	v_mul_f32_e32 v56, v55, v27
	s_delay_alu instid0(VALU_DEP_1) | instskip(NEXT) | instid1(VALU_DEP_1)
	v_fma_f32 v57, -v26, v56, v55
	v_fmac_f32_e32 v56, v57, v27
	s_delay_alu instid0(VALU_DEP_1) | instskip(NEXT) | instid1(VALU_DEP_1)
	v_fma_f32 v26, -v26, v56, v55
	v_div_fmas_f32 v26, v26, v27, v56
	s_delay_alu instid0(VALU_DEP_1)
	v_div_fixup_f32 v25, v26, v25, 1.0
.LBB9_49:
	s_or_b32 exec_lo, exec_lo, s2
	s_waitcnt vmcnt(0)
	v_dual_add_f32 v20, v20, v52 :: v_dual_add_f32 v21, v21, v53
	s_mov_b32 s2, exec_lo
	s_delay_alu instid0(VALU_DEP_1) | instskip(NEXT) | instid1(VALU_DEP_1)
	v_max_f32_e32 v27, 0xff7fffff, v20
	v_dual_mov_b32 v55, v21 :: v_dual_mov_b32 v26, v27
	v_cmpx_ngt_f32_e32 v21, v27
	s_cbranch_execz .LBB9_53
; %bb.50:
	v_mov_b32_e32 v26, 0xff7fffff
	s_mov_b32 s3, exec_lo
	v_cmpx_lt_f32_e32 0xff7fffff, v21
; %bb.51:
	v_mov_b32_e32 v26, v21
; %bb.52:
	s_or_b32 exec_lo, exec_lo, s3
	v_mov_b32_e32 v55, v27
.LBB9_53:
	s_or_b32 exec_lo, exec_lo, s2
	s_delay_alu instid0(VALU_DEP_1) | instskip(SKIP_1) | instid1(VALU_DEP_1)
	v_dual_add_f32 v22, v22, v44 :: v_dual_mov_b32 v27, v55
	s_mov_b32 s2, exec_lo
	v_mov_b32_e32 v56, v22
	v_cmpx_ngt_f32_e32 v22, v55
	s_cbranch_execz .LBB9_57
; %bb.54:
	s_mov_b32 s3, exec_lo
	v_cmpx_gt_f32_e32 v22, v26
; %bb.55:
	v_mov_b32_e32 v26, v22
; %bb.56:
	s_or_b32 exec_lo, exec_lo, s3
	s_delay_alu instid0(VALU_DEP_1)
	v_dual_mov_b32 v27, v26 :: v_dual_mov_b32 v56, v55
.LBB9_57:
	s_or_b32 exec_lo, exec_lo, s2
	s_delay_alu instid0(VALU_DEP_1) | instskip(SKIP_1) | instid1(VALU_DEP_1)
	v_dual_add_f32 v23, v23, v46 :: v_dual_mov_b32 v26, v56
	s_mov_b32 s2, exec_lo
	v_mov_b32_e32 v55, v23
	v_cmpx_ngt_f32_e32 v23, v56
	s_cbranch_execz .LBB9_61
; %bb.58:
	s_mov_b32 s3, exec_lo
	v_cmpx_gt_f32_e32 v23, v27
; %bb.59:
	v_mov_b32_e32 v27, v23
; %bb.60:
	s_or_b32 exec_lo, exec_lo, s3
	s_delay_alu instid0(VALU_DEP_1)
	v_dual_mov_b32 v26, v27 :: v_dual_mov_b32 v55, v56
.LBB9_61:
	s_or_b32 exec_lo, exec_lo, s2
	s_delay_alu instid0(VALU_DEP_1) | instskip(SKIP_1) | instid1(VALU_DEP_1)
	v_dual_add_f32 v16, v16, v45 :: v_dual_mov_b32 v27, v55
	s_mov_b32 s2, exec_lo
	v_mov_b32_e32 v56, v16
	v_cmpx_ngt_f32_e32 v16, v55
	s_cbranch_execz .LBB9_65
; %bb.62:
	s_mov_b32 s3, exec_lo
	v_cmpx_gt_f32_e32 v16, v26
; %bb.63:
	v_mov_b32_e32 v26, v16
; %bb.64:
	s_or_b32 exec_lo, exec_lo, s3
	s_delay_alu instid0(VALU_DEP_1)
	v_dual_mov_b32 v27, v26 :: v_dual_mov_b32 v56, v55
.LBB9_65:
	s_or_b32 exec_lo, exec_lo, s2
	s_delay_alu instid0(VALU_DEP_1) | instskip(SKIP_1) | instid1(VALU_DEP_1)
	v_dual_add_f32 v17, v17, v47 :: v_dual_mov_b32 v26, v56
	s_mov_b32 s2, exec_lo
	v_mov_b32_e32 v55, v17
	v_cmpx_ngt_f32_e32 v17, v56
	s_cbranch_execz .LBB9_69
; %bb.66:
	s_mov_b32 s3, exec_lo
	v_cmpx_gt_f32_e32 v17, v27
; %bb.67:
	v_mov_b32_e32 v27, v17
; %bb.68:
	s_or_b32 exec_lo, exec_lo, s3
	s_delay_alu instid0(VALU_DEP_1)
	v_dual_mov_b32 v26, v27 :: v_dual_mov_b32 v55, v56
.LBB9_69:
	s_or_b32 exec_lo, exec_lo, s2
	s_delay_alu instid0(VALU_DEP_1) | instskip(SKIP_1) | instid1(VALU_DEP_1)
	v_dual_add_f32 v18, v18, v40 :: v_dual_mov_b32 v27, v55
	s_mov_b32 s2, exec_lo
	v_mov_b32_e32 v56, v18
	v_cmpx_ngt_f32_e32 v18, v55
	s_cbranch_execz .LBB9_73
; %bb.70:
	s_mov_b32 s3, exec_lo
	v_cmpx_gt_f32_e32 v18, v26
; %bb.71:
	v_mov_b32_e32 v26, v18
; %bb.72:
	s_or_b32 exec_lo, exec_lo, s3
	s_delay_alu instid0(VALU_DEP_1)
	v_dual_mov_b32 v27, v26 :: v_dual_mov_b32 v56, v55
.LBB9_73:
	s_or_b32 exec_lo, exec_lo, s2
	s_delay_alu instid0(VALU_DEP_1) | instskip(SKIP_1) | instid1(VALU_DEP_1)
	v_dual_add_f32 v19, v19, v42 :: v_dual_mov_b32 v26, v56
	s_mov_b32 s2, exec_lo
	v_mov_b32_e32 v55, v19
	v_cmpx_ngt_f32_e32 v19, v56
	s_cbranch_execz .LBB9_77
; %bb.74:
	s_mov_b32 s3, exec_lo
	v_cmpx_gt_f32_e32 v19, v27
; %bb.75:
	v_mov_b32_e32 v27, v19
; %bb.76:
	s_or_b32 exec_lo, exec_lo, s3
	s_delay_alu instid0(VALU_DEP_1)
	v_dual_mov_b32 v26, v27 :: v_dual_mov_b32 v55, v56
.LBB9_77:
	s_or_b32 exec_lo, exec_lo, s2
	s_delay_alu instid0(VALU_DEP_1) | instskip(SKIP_1) | instid1(VALU_DEP_1)
	v_dual_add_f32 v12, v12, v41 :: v_dual_mov_b32 v27, v55
	s_mov_b32 s2, exec_lo
	v_mov_b32_e32 v56, v12
	v_cmpx_ngt_f32_e32 v12, v55
	s_cbranch_execz .LBB9_81
; %bb.78:
	s_mov_b32 s3, exec_lo
	v_cmpx_gt_f32_e32 v12, v26
; %bb.79:
	v_mov_b32_e32 v26, v12
; %bb.80:
	s_or_b32 exec_lo, exec_lo, s3
	s_delay_alu instid0(VALU_DEP_1)
	v_dual_mov_b32 v27, v26 :: v_dual_mov_b32 v56, v55
.LBB9_81:
	s_or_b32 exec_lo, exec_lo, s2
	s_delay_alu instid0(VALU_DEP_1) | instskip(SKIP_1) | instid1(VALU_DEP_1)
	v_dual_add_f32 v13, v13, v43 :: v_dual_mov_b32 v26, v56
	s_mov_b32 s2, exec_lo
	v_mov_b32_e32 v55, v13
	v_cmpx_ngt_f32_e32 v13, v56
	s_cbranch_execz .LBB9_85
; %bb.82:
	s_mov_b32 s3, exec_lo
	v_cmpx_gt_f32_e32 v13, v27
; %bb.83:
	v_mov_b32_e32 v27, v13
; %bb.84:
	s_or_b32 exec_lo, exec_lo, s3
	s_delay_alu instid0(VALU_DEP_1)
	v_dual_mov_b32 v26, v27 :: v_dual_mov_b32 v55, v56
.LBB9_85:
	s_or_b32 exec_lo, exec_lo, s2
	s_delay_alu instid0(VALU_DEP_1) | instskip(SKIP_1) | instid1(VALU_DEP_1)
	v_dual_add_f32 v14, v14, v36 :: v_dual_mov_b32 v27, v55
	s_mov_b32 s2, exec_lo
	v_mov_b32_e32 v56, v14
	v_cmpx_ngt_f32_e32 v14, v55
	s_cbranch_execz .LBB9_89
; %bb.86:
	s_mov_b32 s3, exec_lo
	v_cmpx_gt_f32_e32 v14, v26
; %bb.87:
	v_mov_b32_e32 v26, v14
; %bb.88:
	s_or_b32 exec_lo, exec_lo, s3
	s_delay_alu instid0(VALU_DEP_1)
	v_dual_mov_b32 v27, v26 :: v_dual_mov_b32 v56, v55
.LBB9_89:
	s_or_b32 exec_lo, exec_lo, s2
	s_delay_alu instid0(VALU_DEP_1) | instskip(SKIP_1) | instid1(VALU_DEP_1)
	v_dual_add_f32 v15, v15, v38 :: v_dual_mov_b32 v26, v56
	s_mov_b32 s2, exec_lo
	v_mov_b32_e32 v55, v15
	v_cmpx_ngt_f32_e32 v15, v56
	s_cbranch_execz .LBB9_93
; %bb.90:
	s_mov_b32 s3, exec_lo
	v_cmpx_gt_f32_e32 v15, v27
; %bb.91:
	v_mov_b32_e32 v27, v15
; %bb.92:
	s_or_b32 exec_lo, exec_lo, s3
	s_delay_alu instid0(VALU_DEP_1)
	v_dual_mov_b32 v26, v27 :: v_dual_mov_b32 v55, v56
.LBB9_93:
	s_or_b32 exec_lo, exec_lo, s2
	s_delay_alu instid0(VALU_DEP_1) | instskip(SKIP_1) | instid1(VALU_DEP_1)
	v_dual_add_f32 v8, v8, v37 :: v_dual_mov_b32 v27, v55
	s_mov_b32 s2, exec_lo
	v_mov_b32_e32 v56, v8
	v_cmpx_ngt_f32_e32 v8, v55
	s_cbranch_execz .LBB9_97
; %bb.94:
	s_mov_b32 s3, exec_lo
	v_cmpx_gt_f32_e32 v8, v26
; %bb.95:
	v_mov_b32_e32 v26, v8
; %bb.96:
	s_or_b32 exec_lo, exec_lo, s3
	s_delay_alu instid0(VALU_DEP_1)
	v_dual_mov_b32 v27, v26 :: v_dual_mov_b32 v56, v55
.LBB9_97:
	s_or_b32 exec_lo, exec_lo, s2
	s_delay_alu instid0(VALU_DEP_1) | instskip(SKIP_1) | instid1(VALU_DEP_1)
	v_dual_add_f32 v9, v9, v39 :: v_dual_mov_b32 v26, v56
	s_mov_b32 s2, exec_lo
	v_mov_b32_e32 v55, v9
	v_cmpx_ngt_f32_e32 v9, v56
	s_cbranch_execz .LBB9_101
; %bb.98:
	s_mov_b32 s3, exec_lo
	v_cmpx_gt_f32_e32 v9, v27
; %bb.99:
	v_mov_b32_e32 v27, v9
; %bb.100:
	s_or_b32 exec_lo, exec_lo, s3
	s_delay_alu instid0(VALU_DEP_1)
	v_dual_mov_b32 v26, v27 :: v_dual_mov_b32 v55, v56
.LBB9_101:
	s_or_b32 exec_lo, exec_lo, s2
	s_delay_alu instid0(VALU_DEP_1) | instskip(SKIP_1) | instid1(VALU_DEP_1)
	v_dual_add_f32 v10, v10, v32 :: v_dual_mov_b32 v27, v55
	s_mov_b32 s2, exec_lo
	v_mov_b32_e32 v56, v10
	v_cmpx_ngt_f32_e32 v10, v55
	s_cbranch_execz .LBB9_105
; %bb.102:
	s_mov_b32 s3, exec_lo
	v_cmpx_gt_f32_e32 v10, v26
; %bb.103:
	v_mov_b32_e32 v26, v10
; %bb.104:
	s_or_b32 exec_lo, exec_lo, s3
	s_delay_alu instid0(VALU_DEP_1)
	v_dual_mov_b32 v27, v26 :: v_dual_mov_b32 v56, v55
.LBB9_105:
	s_or_b32 exec_lo, exec_lo, s2
	s_delay_alu instid0(VALU_DEP_1) | instskip(SKIP_1) | instid1(VALU_DEP_1)
	v_dual_add_f32 v26, v11, v34 :: v_dual_mov_b32 v11, v56
	s_mov_b32 s2, exec_lo
	v_mov_b32_e32 v55, v26
	v_cmpx_ngt_f32_e32 v26, v56
	s_cbranch_execz .LBB9_109
; %bb.106:
	s_mov_b32 s3, exec_lo
	v_cmpx_gt_f32_e32 v26, v27
; %bb.107:
	v_mov_b32_e32 v27, v26
; %bb.108:
	s_or_b32 exec_lo, exec_lo, s3
	s_delay_alu instid0(VALU_DEP_1)
	v_mov_b32_e32 v11, v27
	v_mov_b32_e32 v55, v56
.LBB9_109:
	s_or_b32 exec_lo, exec_lo, s2
	s_delay_alu instid0(VALU_DEP_1) | instskip(SKIP_1) | instid1(VALU_DEP_1)
	v_dual_add_f32 v27, v4, v33 :: v_dual_mov_b32 v4, v55
	s_mov_b32 s2, exec_lo
	v_mov_b32_e32 v56, v27
	v_cmpx_ngt_f32_e32 v27, v55
	s_cbranch_execz .LBB9_113
; %bb.110:
	s_mov_b32 s3, exec_lo
	v_cmpx_gt_f32_e32 v27, v11
; %bb.111:
	v_mov_b32_e32 v11, v27
; %bb.112:
	s_or_b32 exec_lo, exec_lo, s3
	s_delay_alu instid0(VALU_DEP_1)
	v_mov_b32_e32 v4, v11
	v_mov_b32_e32 v56, v55
.LBB9_113:
	s_or_b32 exec_lo, exec_lo, s2
	v_add_f32_e32 v55, v5, v35
	s_delay_alu instid0(VALU_DEP_2) | instskip(SKIP_1) | instid1(VALU_DEP_2)
	v_mov_b32_e32 v5, v56
	s_mov_b32 s2, exec_lo
	v_mov_b32_e32 v11, v55
	v_cmpx_ngt_f32_e32 v55, v56
	s_cbranch_execz .LBB9_117
; %bb.114:
	s_mov_b32 s3, exec_lo
	v_cmpx_gt_f32_e32 v55, v4
; %bb.115:
	v_mov_b32_e32 v4, v55
; %bb.116:
	s_or_b32 exec_lo, exec_lo, s3
	s_delay_alu instid0(VALU_DEP_1)
	v_mov_b32_e32 v5, v4
	v_mov_b32_e32 v11, v56
.LBB9_117:
	s_or_b32 exec_lo, exec_lo, s2
	v_add_f32_e32 v6, v6, v28
	s_delay_alu instid0(VALU_DEP_2) | instskip(SKIP_1) | instid1(VALU_DEP_2)
	v_mov_b32_e32 v4, v11
	;; [unrolled: 19-line block ×7, first 2 shown]
	s_mov_b32 s2, exec_lo
	v_mov_b32_e32 v3, v59
	v_cmpx_ngt_f32_e32 v59, v2
	s_cbranch_execz .LBB9_141
; %bb.138:
	s_mov_b32 s3, exec_lo
	v_cmpx_gt_f32_e32 v59, v0
; %bb.139:
	v_mov_b32_e32 v0, v59
; %bb.140:
	s_or_b32 exec_lo, exec_lo, s3
	s_delay_alu instid0(VALU_DEP_1)
	v_mov_b32_e32 v1, v0
	v_mov_b32_e32 v3, v2
.LBB9_141:
	s_or_b32 exec_lo, exec_lo, s2
	v_cmp_lt_i64_e64 s2, s[46:47], 8
	s_delay_alu instid0(VALU_DEP_1)
	s_and_b32 vcc_lo, exec_lo, s2
	s_cbranch_vccz .LBB9_144
; %bb.142:
	v_add_f32_e32 v0, v1, v3
	s_sub_u32 s4, 8, s46
	s_subb_u32 s5, 0, s47
	s_mov_b64 s[6:7], 0
.LBB9_143:                              ; =>This Inner Loop Header: Depth=1
	s_delay_alu instid0(VALU_DEP_1) | instskip(SKIP_1) | instid1(VALU_DEP_2)
	v_mov_b32_dpp v1, v0 quad_perm:[1,0,3,2] row_mask:0xf bank_mask:0xf
	v_mov_b32_dpp v2, v51 quad_perm:[1,0,3,2] row_mask:0xf bank_mask:0xf
	v_cmp_eq_f32_e32 vcc_lo, v0, v1
	s_delay_alu instid0(VALU_DEP_2) | instskip(SKIP_1) | instid1(VALU_DEP_2)
	v_cmp_lt_i32_e64 s2, v51, v2
	v_cmp_lt_f32_e64 s3, v0, v1
	s_and_b32 s2, s2, vcc_lo
	s_delay_alu instid0(VALU_DEP_1) | instid1(SALU_CYCLE_1)
	s_or_b32 vcc_lo, s3, s2
	v_dual_cndmask_b32 v1, v1, v0 :: v_dual_cndmask_b32 v2, v2, v51
	s_delay_alu instid0(VALU_DEP_1) | instskip(NEXT) | instid1(VALU_DEP_2)
	v_mov_b32_dpp v3, v1 quad_perm:[2,3,0,1] row_mask:0xf bank_mask:0xf
	v_mov_b32_dpp v4, v2 quad_perm:[2,3,0,1] row_mask:0xf bank_mask:0xf
	s_delay_alu instid0(VALU_DEP_2) | instskip(NEXT) | instid1(VALU_DEP_2)
	v_cmp_eq_f32_e32 vcc_lo, v1, v3
	v_cmp_lt_i32_e64 s2, v2, v4
	s_delay_alu instid0(VALU_DEP_1) | instskip(SKIP_2) | instid1(VALU_DEP_2)
	s_and_b32 vcc_lo, vcc_lo, s2
	v_cmp_lt_f32_e64 s2, v1, v3
	v_cndmask_b32_e32 v5, v3, v1, vcc_lo
	s_or_b32 vcc_lo, s2, vcc_lo
	s_add_u32 s6, s6, 1
	v_cndmask_b32_e32 v2, v4, v2, vcc_lo
	s_delay_alu instid0(VALU_DEP_2) | instskip(SKIP_1) | instid1(SALU_CYCLE_1)
	v_cndmask_b32_e64 v1, v5, v1, s2
	s_addc_u32 s7, s7, 0
	v_cmp_le_i64_e64 s2, s[4:5], s[6:7]
	s_delay_alu instid0(VALU_DEP_3) | instskip(NEXT) | instid1(VALU_DEP_3)
	v_mov_b32_dpp v3, v2 row_half_mirror row_mask:0xf bank_mask:0xf
	v_mov_b32_dpp v4, v1 row_half_mirror row_mask:0xf bank_mask:0xf
	s_delay_alu instid0(VALU_DEP_2) | instskip(NEXT) | instid1(VALU_DEP_2)
	v_min_i32_e32 v5, v2, v3
	v_cmp_eq_f32_e32 vcc_lo, v1, v4
	s_delay_alu instid0(VALU_DEP_2) | instskip(SKIP_1) | instid1(VALU_DEP_2)
	v_cndmask_b32_e32 v3, v3, v5, vcc_lo
	v_cmp_lt_f32_e32 vcc_lo, v1, v4
	v_cndmask_b32_e32 v1, v3, v2, vcc_lo
	s_delay_alu instid0(VALU_DEP_1) | instskip(NEXT) | instid1(VALU_DEP_1)
	v_mul_hi_i32 v1, 0x2aaaaaab, v1
	v_lshrrev_b32_e32 v2, 31, v1
	v_ashrrev_i32_e32 v1, 2, v1
	s_delay_alu instid0(VALU_DEP_1) | instskip(NEXT) | instid1(VALU_DEP_1)
	v_add_nc_u32_e32 v1, v1, v2
	v_cmp_eq_u32_e32 vcc_lo, v50, v1
	v_cndmask_b32_e64 v20, v20, 0x7f7fffff, vcc_lo
	v_cndmask_b32_e64 v0, v0, 0x7f7fffff, vcc_lo
	s_and_b32 vcc_lo, exec_lo, s2
	s_cbranch_vccz .LBB9_143
.LBB9_144:
	s_sub_u32 s26, s48, s50
	s_subb_u32 s27, s49, s51
	s_mov_b64 s[2:3], src_shared_base
	s_cmp_lg_u32 0, -1
	v_lshlrev_b32_e32 v4, 2, v54
	s_cselect_b32 s2, s3, 0
	s_cselect_b32 s3, 0, 0
	s_load_b32 s30, s[0:1], 0x48
	s_add_u32 s4, s3, 0xff
	s_addc_u32 s3, s2, 0
	s_and_b32 s2, s4, 0xffffff00
	s_delay_alu instid0(SALU_CYCLE_1) | instskip(SKIP_1) | instid1(VALU_DEP_1)
	v_mad_u64_u32 v[0:1], null, v4, s48, s[2:3]
	v_cmp_lt_i64_e64 s2, s[26:27], 1
	s_and_b32 vcc_lo, exec_lo, s2
	s_delay_alu instid0(VALU_DEP_2) | instskip(SKIP_1) | instid1(VALU_DEP_2)
	v_mad_u64_u32 v[2:3], null, v4, s49, v[1:2]
	v_cmp_eq_u32_e64 s2, 0, v50
	v_mov_b32_e32 v1, v2
	s_cbranch_vccnz .LBB9_155
; %bb.145:
	s_waitcnt lgkmcnt(0)
	v_mad_u64_u32 v[2:3], null, s30, v48, 0
	s_ashr_i32 s3, s30, 31
	v_add_nc_u32_e32 v62, 11, v51
	v_dual_mov_b32 v11, 0 :: v_dual_add_nc_u32 v60, 9, v51
	v_add_nc_u32_e32 v61, 10, v51
	v_add_nc_u32_e32 v63, 12, v51
	v_mad_u64_u32 v[4:5], null, s3, v48, v[3:4]
	v_add_nc_u32_e32 v54, 8, v51
	v_add_nc_u32_e32 v64, 13, v51
	;; [unrolled: 1-line block ×5, first 2 shown]
	v_dual_mov_b32 v3, v4 :: v_dual_add_nc_u32 v68, 17, v51
	v_mov_b32_e32 v5, v1
	v_add_nc_u32_e32 v69, 18, v51
	v_add_nc_u32_e32 v70, 19, v51
	;; [unrolled: 1-line block ×3, first 2 shown]
	v_lshlrev_b64 v[2:3], 2, v[2:3]
	v_add_nc_u32_e32 v72, 21, v51
	v_add_nc_u32_e32 v73, 22, v51
	;; [unrolled: 1-line block ×3, first 2 shown]
	v_mov_b32_e32 v4, v0
	s_mov_b64 s[28:29], 0
	v_add_co_u32 v2, vcc_lo, s42, v2
	v_add_co_ci_u32_e32 v3, vcc_lo, s43, v3, vcc_lo
	s_branch .LBB9_147
.LBB9_146:                              ;   in Loop: Header=BB9_147 Depth=1
	s_or_b32 exec_lo, exec_lo, s3
	s_add_u32 s28, s28, 1
	s_addc_u32 s29, s29, 0
	v_add_co_u32 v2, vcc_lo, v2, 4
	v_cmp_le_i64_e64 s3, s[26:27], s[28:29]
	v_add_co_ci_u32_e32 v3, vcc_lo, 0, v3, vcc_lo
	v_add_co_u32 v4, vcc_lo, v4, 4
	v_add_co_ci_u32_e32 v5, vcc_lo, 0, v5, vcc_lo
	s_delay_alu instid0(VALU_DEP_4)
	s_and_b32 vcc_lo, exec_lo, s3
	s_cbranch_vccnz .LBB9_156
.LBB9_147:                              ; =>This Inner Loop Header: Depth=1
	v_dual_mov_b32 v75, 0xff7fffff :: v_dual_mov_b32 v76, v51
	s_mov_b32 s3, exec_lo
	v_cmpx_neq_f32_e32 0x7f7fffff, v20
	s_cbranch_execz .LBB9_149
; %bb.148:                              ;   in Loop: Header=BB9_147 Depth=1
	v_cmp_gt_f32_e32 vcc_lo, v21, v20
	v_cndmask_b32_e32 v75, v20, v21, vcc_lo
	v_cndmask_b32_e64 v76, 0, 1, vcc_lo
	s_delay_alu instid0(VALU_DEP_2) | instskip(SKIP_1) | instid1(VALU_DEP_3)
	v_cmp_gt_f32_e32 vcc_lo, v22, v75
	v_cndmask_b32_e32 v75, v75, v22, vcc_lo
	v_cndmask_b32_e64 v76, v76, 2, vcc_lo
	s_delay_alu instid0(VALU_DEP_2) | instskip(SKIP_1) | instid1(VALU_DEP_3)
	;; [unrolled: 4-line block ×6, first 2 shown]
	v_cmp_gt_f32_e32 vcc_lo, v19, v75
	v_cndmask_b32_e32 v75, v75, v19, vcc_lo
	v_cndmask_b32_e64 v76, v76, 7, vcc_lo
	s_delay_alu instid0(VALU_DEP_2) | instskip(NEXT) | instid1(VALU_DEP_2)
	v_cmp_gt_f32_e32 vcc_lo, v12, v75
	v_or_b32_e32 v76, v76, v51
	s_delay_alu instid0(VALU_DEP_1) | instskip(NEXT) | instid1(VALU_DEP_1)
	v_dual_cndmask_b32 v75, v75, v12 :: v_dual_cndmask_b32 v76, v76, v54
	v_cmp_gt_f32_e32 vcc_lo, v13, v75
	s_delay_alu instid0(VALU_DEP_2) | instskip(NEXT) | instid1(VALU_DEP_1)
	v_dual_cndmask_b32 v75, v75, v13 :: v_dual_cndmask_b32 v76, v76, v60
	v_cmp_gt_f32_e32 vcc_lo, v14, v75
	s_delay_alu instid0(VALU_DEP_2) | instskip(NEXT) | instid1(VALU_DEP_1)
	;; [unrolled: 3-line block ×6, first 2 shown]
	v_dual_cndmask_b32 v75, v75, v10 :: v_dual_cndmask_b32 v76, v76, v65
	v_cmp_gt_f32_e32 vcc_lo, v26, v75
	v_cndmask_b32_e32 v75, v75, v26, vcc_lo
	s_delay_alu instid0(VALU_DEP_3) | instskip(NEXT) | instid1(VALU_DEP_2)
	v_cndmask_b32_e32 v76, v76, v66, vcc_lo
	v_cmp_gt_f32_e32 vcc_lo, v27, v75
	v_cndmask_b32_e32 v75, v75, v27, vcc_lo
	s_delay_alu instid0(VALU_DEP_3) | instskip(NEXT) | instid1(VALU_DEP_2)
	v_cndmask_b32_e32 v76, v76, v67, vcc_lo
	v_cmp_gt_f32_e32 vcc_lo, v55, v75
	s_delay_alu instid0(VALU_DEP_2) | instskip(NEXT) | instid1(VALU_DEP_1)
	v_dual_cndmask_b32 v75, v75, v55 :: v_dual_cndmask_b32 v76, v76, v68
	v_cmp_gt_f32_e32 vcc_lo, v6, v75
	s_delay_alu instid0(VALU_DEP_2) | instskip(NEXT) | instid1(VALU_DEP_1)
	v_dual_cndmask_b32 v75, v75, v6 :: v_dual_cndmask_b32 v76, v76, v69
	;; [unrolled: 3-line block ×6, first 2 shown]
	v_cmp_gt_f32_e32 vcc_lo, v59, v75
	s_delay_alu instid0(VALU_DEP_2)
	v_dual_cndmask_b32 v76, v76, v74 :: v_dual_cndmask_b32 v75, v75, v59
.LBB9_149:                              ;   in Loop: Header=BB9_147 Depth=1
	s_or_b32 exec_lo, exec_lo, s3
	s_delay_alu instid0(VALU_DEP_1) | instskip(NEXT) | instid1(VALU_DEP_2)
	v_mov_b32_dpp v77, v75 quad_perm:[1,0,3,2] row_mask:0xf bank_mask:0xf
	v_mov_b32_dpp v78, v76 quad_perm:[1,0,3,2] row_mask:0xf bank_mask:0xf
	s_mov_b32 s31, exec_lo
	s_delay_alu instid0(VALU_DEP_2) | instskip(NEXT) | instid1(VALU_DEP_2)
	v_cmp_eq_f32_e32 vcc_lo, v75, v77
	v_cmp_lt_i32_e64 s3, v76, v78
	v_cmp_gt_f32_e64 s4, v75, v77
	s_delay_alu instid0(VALU_DEP_2)
	s_and_b32 s3, vcc_lo, s3
	s_delay_alu instid0(VALU_DEP_1) | instid1(SALU_CYCLE_1)
	s_or_b32 vcc_lo, s4, s3
	v_dual_cndmask_b32 v75, v77, v75 :: v_dual_cndmask_b32 v76, v78, v76
	s_delay_alu instid0(VALU_DEP_1) | instskip(NEXT) | instid1(VALU_DEP_2)
	v_mov_b32_dpp v77, v75 quad_perm:[2,3,0,1] row_mask:0xf bank_mask:0xf
	v_mov_b32_dpp v78, v76 quad_perm:[2,3,0,1] row_mask:0xf bank_mask:0xf
	s_delay_alu instid0(VALU_DEP_2) | instskip(NEXT) | instid1(VALU_DEP_2)
	v_cmp_eq_f32_e32 vcc_lo, v75, v77
	v_cmp_lt_i32_e64 s3, v76, v78
	s_delay_alu instid0(VALU_DEP_1) | instskip(SKIP_2) | instid1(VALU_DEP_2)
	s_and_b32 vcc_lo, vcc_lo, s3
	v_cmp_gt_f32_e64 s3, v75, v77
	v_cndmask_b32_e32 v79, v77, v75, vcc_lo
	s_or_b32 vcc_lo, s3, vcc_lo
	v_cndmask_b32_e32 v76, v78, v76, vcc_lo
	s_delay_alu instid0(VALU_DEP_2) | instskip(NEXT) | instid1(VALU_DEP_2)
	v_cndmask_b32_e64 v75, v79, v75, s3
	v_mov_b32_dpp v77, v76 row_half_mirror row_mask:0xf bank_mask:0xf
	s_delay_alu instid0(VALU_DEP_2) | instskip(NEXT) | instid1(VALU_DEP_2)
	v_mov_b32_dpp v78, v75 row_half_mirror row_mask:0xf bank_mask:0xf
	v_min_i32_e32 v79, v76, v77
	s_delay_alu instid0(VALU_DEP_2) | instskip(NEXT) | instid1(VALU_DEP_2)
	v_cmp_eq_f32_e32 vcc_lo, v75, v78
	v_cndmask_b32_e32 v77, v77, v79, vcc_lo
	v_cmp_gt_f32_e32 vcc_lo, v75, v78
	s_delay_alu instid0(VALU_DEP_2) | instskip(NEXT) | instid1(VALU_DEP_1)
	v_cndmask_b32_e32 v75, v77, v76, vcc_lo
	v_mul_hi_i32 v76, 0x2aaaaaab, v75
	s_delay_alu instid0(VALU_DEP_1) | instskip(SKIP_1) | instid1(VALU_DEP_1)
	v_lshrrev_b32_e32 v77, 31, v76
	v_ashrrev_i32_e32 v76, 2, v76
	v_add_nc_u32_e32 v76, v76, v77
	s_delay_alu instid0(VALU_DEP_1)
	v_cmpx_eq_u32_e64 v50, v76
	s_cbranch_execz .LBB9_153
; %bb.150:                              ;   in Loop: Header=BB9_147 Depth=1
	v_sub_nc_u32_e32 v76, v75, v51
	s_mov_b32 s33, exec_lo
	s_delay_alu instid0(VALU_DEP_1)
	v_cmp_eq_u32_e32 vcc_lo, 1, v76
	v_cmp_eq_u32_e64 s3, 2, v76
	v_cmp_eq_u32_e64 s4, 3, v76
	;; [unrolled: 1-line block ×22, first 2 shown]
	v_cmpx_gt_u32_e32 24, v76
	s_cbranch_execz .LBB9_152
; %bb.151:                              ;   in Loop: Header=BB9_147 Depth=1
	v_cndmask_b32_e32 v77, v52, v53, vcc_lo
	s_delay_alu instid0(VALU_DEP_1) | instskip(NEXT) | instid1(VALU_DEP_1)
	v_cndmask_b32_e64 v77, v77, v44, s3
	v_cndmask_b32_e64 v77, v77, v46, s4
	s_delay_alu instid0(VALU_DEP_1) | instskip(NEXT) | instid1(VALU_DEP_1)
	v_cndmask_b32_e64 v77, v77, v45, s5
	v_cndmask_b32_e64 v77, v77, v47, s6
	;; [unrolled: 3-line block ×11, first 2 shown]
	flat_store_b32 v[4:5], v77
.LBB9_152:                              ;   in Loop: Header=BB9_147 Depth=1
	s_or_b32 exec_lo, exec_lo, s33
	v_cmp_ne_u32_e64 s25, 0, v76
	v_cndmask_b32_e64 v21, v21, 0xff7fffff, vcc_lo
	v_cndmask_b32_e64 v22, v22, 0xff7fffff, s3
	v_cndmask_b32_e64 v23, v23, 0xff7fffff, s4
	;; [unrolled: 1-line block ×23, first 2 shown]
	global_store_b32 v[2:3], v75, off
.LBB9_153:                              ;   in Loop: Header=BB9_147 Depth=1
	s_or_b32 exec_lo, exec_lo, s31
	s_waitcnt lgkmcnt(0)
	s_waitcnt_vscnt null, 0x0
	s_barrier
	buffer_gl0_inv
	s_and_saveexec_b32 s3, s2
	s_cbranch_execz .LBB9_146
; %bb.154:                              ;   in Loop: Header=BB9_147 Depth=1
	flat_load_b32 v75, v[4:5]
	s_waitcnt vmcnt(0) lgkmcnt(0)
	v_add_f32_e32 v11, v11, v75
	s_branch .LBB9_146
.LBB9_155:
	v_mov_b32_e32 v11, 0
.LBB9_156:
	v_cmp_gt_i64_e64 s3, s[50:51], 0
	v_cmp_eq_u32_e64 s2, 0, v50
	s_delay_alu instid0(VALU_DEP_1) | instskip(NEXT) | instid1(SALU_CYCLE_1)
	s_and_b32 s4, s2, s3
	s_and_saveexec_b32 s3, s4
	s_cbranch_execz .LBB9_162
; %bb.157:
	v_dual_mov_b32 v2, v48 :: v_dual_mov_b32 v3, v49
	s_mov_b32 s4, exec_lo
	v_cmpx_le_u64_e64 s[50:51], v[48:49]
	s_cbranch_execz .LBB9_159
; %bb.158:
	v_cvt_f32_u32_e32 v2, s50
	s_sub_i32 s5, 0, s50
	s_delay_alu instid0(VALU_DEP_1) | instskip(SKIP_2) | instid1(VALU_DEP_1)
	v_rcp_iflag_f32_e32 v2, v2
	s_waitcnt_depctr 0xfff
	v_mul_f32_e32 v2, 0x4f7ffffe, v2
	v_cvt_u32_f32_e32 v2, v2
	s_delay_alu instid0(VALU_DEP_1) | instskip(NEXT) | instid1(VALU_DEP_1)
	v_mul_lo_u32 v3, s5, v2
	v_mul_hi_u32 v3, v2, v3
	s_delay_alu instid0(VALU_DEP_1) | instskip(NEXT) | instid1(VALU_DEP_1)
	v_add_nc_u32_e32 v2, v2, v3
	v_mul_hi_u32 v2, v48, v2
	s_delay_alu instid0(VALU_DEP_1) | instskip(NEXT) | instid1(VALU_DEP_1)
	v_mul_lo_u32 v2, v2, s50
	v_sub_nc_u32_e32 v2, v48, v2
	s_delay_alu instid0(VALU_DEP_1) | instskip(SKIP_1) | instid1(VALU_DEP_2)
	v_subrev_nc_u32_e32 v3, s50, v2
	v_cmp_le_u32_e32 vcc_lo, s50, v2
	v_cndmask_b32_e32 v2, v2, v3, vcc_lo
	s_delay_alu instid0(VALU_DEP_1) | instskip(SKIP_1) | instid1(VALU_DEP_2)
	v_subrev_nc_u32_e32 v3, s50, v2
	v_cmp_le_u32_e32 vcc_lo, s50, v2
	v_dual_cndmask_b32 v2, v2, v3 :: v_dual_mov_b32 v3, 0
.LBB9_159:
	s_or_b32 exec_lo, exec_lo, s4
	v_cvt_f64_f32_e32 v[4:5], v11
	s_load_b64 s[0:1], s[0:1], 0x40
	s_waitcnt lgkmcnt(0)
	s_delay_alu instid0(VALU_DEP_1) | instskip(SKIP_1) | instid1(VALU_DEP_2)
	v_div_scale_f64 v[6:7], null, s[0:1], s[0:1], v[4:5]
	v_div_scale_f64 v[14:15], vcc_lo, v[4:5], s[0:1], v[4:5]
	v_rcp_f64_e32 v[8:9], v[6:7]
	s_waitcnt_depctr 0xfff
	v_fma_f64 v[12:13], -v[6:7], v[8:9], 1.0
	s_delay_alu instid0(VALU_DEP_1) | instskip(NEXT) | instid1(VALU_DEP_1)
	v_fma_f64 v[8:9], v[8:9], v[12:13], v[8:9]
	v_fma_f64 v[12:13], -v[6:7], v[8:9], 1.0
	s_delay_alu instid0(VALU_DEP_1) | instskip(NEXT) | instid1(VALU_DEP_1)
	v_fma_f64 v[8:9], v[8:9], v[12:13], v[8:9]
	v_mul_f64 v[12:13], v[14:15], v[8:9]
	s_delay_alu instid0(VALU_DEP_1) | instskip(NEXT) | instid1(VALU_DEP_1)
	v_fma_f64 v[6:7], -v[6:7], v[12:13], v[14:15]
	v_div_fmas_f64 v[6:7], v[6:7], v[8:9], v[12:13]
	v_add_nc_u32_e32 v12, 0xc0, v2
	s_delay_alu instid0(VALU_DEP_2) | instskip(SKIP_2) | instid1(VALU_DEP_2)
	v_div_fixup_f64 v[4:5], v[6:7], s[0:1], v[4:5]
	v_mad_u64_u32 v[6:7], null, s30, v48, s[26:27]
	s_ashr_i32 s0, s30, 31
	v_cvt_f32_f64_e32 v8, v[4:5]
	s_delay_alu instid0(VALU_DEP_2) | instskip(NEXT) | instid1(VALU_DEP_1)
	v_mov_b32_e32 v4, v7
	v_mad_u64_u32 v[9:10], null, s0, v48, v[4:5]
	v_cmp_lt_u64_e64 s0, s[50:51], 2
	s_delay_alu instid0(VALU_DEP_2) | instskip(NEXT) | instid1(VALU_DEP_1)
	v_mov_b32_e32 v7, v9
	v_lshlrev_b64 v[4:5], 2, v[6:7]
	s_delay_alu instid0(VALU_DEP_1) | instskip(NEXT) | instid1(VALU_DEP_2)
	v_add_co_u32 v6, vcc_lo, s42, v4
	v_add_co_ci_u32_e32 v7, vcc_lo, s43, v5, vcc_lo
	v_add_co_u32 v9, vcc_lo, s40, v4
	v_add_co_ci_u32_e32 v10, vcc_lo, s41, v5, vcc_lo
	s_and_b32 vcc_lo, exec_lo, s0
	global_store_b32 v[6:7], v12, off
	global_store_b32 v[9:10], v8, off
	s_cbranch_vccnz .LBB9_162
; %bb.160:
	v_add_co_u32 v6, vcc_lo, v4, 4
	v_add_co_ci_u32_e32 v7, vcc_lo, 0, v5, vcc_lo
	s_mov_b64 s[0:1], 1
	s_delay_alu instid0(VALU_DEP_2) | instskip(NEXT) | instid1(VALU_DEP_2)
	v_add_co_u32 v4, vcc_lo, s40, v6
	v_add_co_ci_u32_e32 v5, vcc_lo, s41, v7, vcc_lo
	v_add_co_u32 v6, vcc_lo, s42, v6
	v_add_co_ci_u32_e32 v7, vcc_lo, s43, v7, vcc_lo
	.p2align	6
.LBB9_161:                              ; =>This Inner Loop Header: Depth=1
	s_delay_alu instid0(VALU_DEP_2)
	v_add_co_u32 v9, vcc_lo, v2, 1
	v_add_co_ci_u32_e32 v10, vcc_lo, 0, v3, vcc_lo
	v_add_nc_u32_e32 v2, 0xc1, v2
	s_add_u32 s0, s0, 1
	global_store_b32 v[4:5], v8, off
	v_add_co_u32 v4, vcc_lo, v4, 4
	s_addc_u32 s1, s1, 0
	v_add_co_ci_u32_e32 v5, vcc_lo, 0, v5, vcc_lo
	v_cmp_lt_u64_e64 s4, s[0:1], s[50:51]
	global_store_b32 v[6:7], v2, off
	v_add_co_u32 v6, vcc_lo, v6, 4
	v_dual_mov_b32 v2, v9 :: v_dual_mov_b32 v3, v10
	v_add_co_ci_u32_e32 v7, vcc_lo, 0, v7, vcc_lo
	s_and_b32 vcc_lo, exec_lo, s4
	s_cbranch_vccnz .LBB9_161
.LBB9_162:
	s_or_b32 exec_lo, exec_lo, s3
	v_cmp_gt_i64_e64 s3, s[48:49], 0
	s_mov_b64 s[0:1], 0
	s_waitcnt lgkmcnt(0)
	s_waitcnt_vscnt null, 0x0
	s_barrier
	buffer_gl0_inv
	s_and_b32 s2, s2, s3
	s_delay_alu instid0(SALU_CYCLE_1)
	s_and_b32 exec_lo, exec_lo, s2
	s_cbranch_execz .LBB9_169
; %bb.163:
	v_mad_u64_u32 v[2:3], null, s30, v48, 0
	s_ashr_i32 s2, s30, 31
	s_delay_alu instid0(VALU_DEP_1) | instid1(SALU_CYCLE_1)
	v_mad_u64_u32 v[4:5], null, s2, v48, v[3:4]
	v_cmp_lt_u64_e64 s2, s[48:49], 8
	s_delay_alu instid0(VALU_DEP_2) | instskip(NEXT) | instid1(VALU_DEP_1)
	v_mov_b32_e32 v3, v4
	v_lshlrev_b64 v[2:3], 2, v[2:3]
	s_delay_alu instid0(VALU_DEP_1) | instskip(NEXT) | instid1(VALU_DEP_2)
	v_add_co_u32 v2, vcc_lo, s40, v2
	v_add_co_ci_u32_e32 v3, vcc_lo, s41, v3, vcc_lo
	s_and_b32 vcc_lo, exec_lo, s2
	s_cbranch_vccnz .LBB9_166
; %bb.164:
	s_and_b32 s1, s49, 0x7fffffff
	s_and_b32 s0, s48, -8
	s_mov_b64 s[2:3], 0
	s_mov_b64 s[4:5], s[0:1]
.LBB9_165:                              ; =>This Inner Loop Header: Depth=1
	v_add_co_u32 v4, vcc_lo, v0, s2
	v_add_co_ci_u32_e32 v5, vcc_lo, s3, v1, vcc_lo
	flat_load_b32 v8, v[4:5]
	s_waitcnt vmcnt(0) lgkmcnt(0)
	v_div_scale_f32 v6, null, v11, v11, v8
	v_div_scale_f32 v10, vcc_lo, v8, v11, v8
	s_delay_alu instid0(VALU_DEP_2) | instskip(SKIP_2) | instid1(VALU_DEP_1)
	v_rcp_f32_e32 v7, v6
	s_waitcnt_depctr 0xfff
	v_fma_f32 v9, -v6, v7, 1.0
	v_fmac_f32_e32 v7, v9, v7
	s_delay_alu instid0(VALU_DEP_1) | instskip(NEXT) | instid1(VALU_DEP_1)
	v_mul_f32_e32 v9, v10, v7
	v_fma_f32 v12, -v6, v9, v10
	s_delay_alu instid0(VALU_DEP_1) | instskip(NEXT) | instid1(VALU_DEP_1)
	v_fmac_f32_e32 v9, v12, v7
	v_fma_f32 v6, -v6, v9, v10
	s_delay_alu instid0(VALU_DEP_1) | instskip(SKIP_2) | instid1(VALU_DEP_3)
	v_div_fmas_f32 v9, v6, v7, v9
	v_add_co_u32 v6, vcc_lo, v2, s2
	v_add_co_ci_u32_e32 v7, vcc_lo, s3, v3, vcc_lo
	v_div_fixup_f32 v8, v9, v11, v8
	s_add_u32 s2, s2, 32
	s_addc_u32 s3, s3, 0
	s_add_u32 s4, s4, -8
	s_addc_u32 s5, s5, -1
	global_store_b32 v[6:7], v8, off
	flat_load_b32 v8, v[4:5] offset:4
	s_cmp_lg_u64 s[4:5], 0
	s_waitcnt vmcnt(0) lgkmcnt(0)
	v_div_scale_f32 v9, null, v11, v11, v8
	v_div_scale_f32 v13, vcc_lo, v8, v11, v8
	s_delay_alu instid0(VALU_DEP_2) | instskip(SKIP_2) | instid1(VALU_DEP_1)
	v_rcp_f32_e32 v10, v9
	s_waitcnt_depctr 0xfff
	v_fma_f32 v12, -v9, v10, 1.0
	v_fmac_f32_e32 v10, v12, v10
	s_delay_alu instid0(VALU_DEP_1) | instskip(NEXT) | instid1(VALU_DEP_1)
	v_mul_f32_e32 v12, v13, v10
	v_fma_f32 v14, -v9, v12, v13
	s_delay_alu instid0(VALU_DEP_1) | instskip(NEXT) | instid1(VALU_DEP_1)
	v_fmac_f32_e32 v12, v14, v10
	v_fma_f32 v9, -v9, v12, v13
	s_delay_alu instid0(VALU_DEP_1) | instskip(NEXT) | instid1(VALU_DEP_1)
	v_div_fmas_f32 v9, v9, v10, v12
	v_div_fixup_f32 v8, v9, v11, v8
	global_store_b32 v[6:7], v8, off offset:4
	flat_load_b32 v8, v[4:5] offset:8
	s_waitcnt vmcnt(0) lgkmcnt(0)
	v_div_scale_f32 v9, null, v11, v11, v8
	v_div_scale_f32 v13, vcc_lo, v8, v11, v8
	s_delay_alu instid0(VALU_DEP_2) | instskip(SKIP_2) | instid1(VALU_DEP_1)
	v_rcp_f32_e32 v10, v9
	s_waitcnt_depctr 0xfff
	v_fma_f32 v12, -v9, v10, 1.0
	v_fmac_f32_e32 v10, v12, v10
	s_delay_alu instid0(VALU_DEP_1) | instskip(NEXT) | instid1(VALU_DEP_1)
	v_mul_f32_e32 v12, v13, v10
	v_fma_f32 v14, -v9, v12, v13
	s_delay_alu instid0(VALU_DEP_1) | instskip(NEXT) | instid1(VALU_DEP_1)
	v_fmac_f32_e32 v12, v14, v10
	v_fma_f32 v9, -v9, v12, v13
	s_delay_alu instid0(VALU_DEP_1) | instskip(NEXT) | instid1(VALU_DEP_1)
	v_div_fmas_f32 v9, v9, v10, v12
	v_div_fixup_f32 v8, v9, v11, v8
	global_store_b32 v[6:7], v8, off offset:8
	flat_load_b32 v8, v[4:5] offset:12
	;; [unrolled: 19-line block ×6, first 2 shown]
	s_waitcnt vmcnt(0) lgkmcnt(0)
	v_div_scale_f32 v5, null, v11, v11, v4
	v_div_scale_f32 v10, vcc_lo, v4, v11, v4
	s_delay_alu instid0(VALU_DEP_2) | instskip(SKIP_2) | instid1(VALU_DEP_1)
	v_rcp_f32_e32 v8, v5
	s_waitcnt_depctr 0xfff
	v_fma_f32 v9, -v5, v8, 1.0
	v_fmac_f32_e32 v8, v9, v8
	s_delay_alu instid0(VALU_DEP_1) | instskip(NEXT) | instid1(VALU_DEP_1)
	v_mul_f32_e32 v9, v10, v8
	v_fma_f32 v12, -v5, v9, v10
	s_delay_alu instid0(VALU_DEP_1) | instskip(NEXT) | instid1(VALU_DEP_1)
	v_fmac_f32_e32 v9, v12, v8
	v_fma_f32 v5, -v5, v9, v10
	s_delay_alu instid0(VALU_DEP_1) | instskip(NEXT) | instid1(VALU_DEP_1)
	v_div_fmas_f32 v5, v5, v8, v9
	v_div_fixup_f32 v4, v5, v11, v4
	global_store_b32 v[6:7], v4, off offset:28
	s_cbranch_scc1 .LBB9_165
.LBB9_166:
	s_and_b32 s2, s48, 7
	s_mov_b32 s3, 0
	s_delay_alu instid0(SALU_CYCLE_1)
	s_cmp_eq_u64 s[2:3], 0
	s_cbranch_scc1 .LBB9_169
; %bb.167:
	s_mov_b64 s[4:5], s[2:3]
	s_set_inst_prefetch_distance 0x1
	.p2align	6
.LBB9_168:                              ; =>This Inner Loop Header: Depth=1
	s_lshl_b64 s[6:7], s[0:1], 2
	s_add_i32 s2, s0, 1
	v_add_co_u32 v4, vcc_lo, v0, s6
	v_add_co_ci_u32_e32 v5, vcc_lo, s7, v1, vcc_lo
	s_add_u32 s4, s4, -1
	s_addc_u32 s5, s5, -1
	s_mov_b64 s[0:1], s[2:3]
	flat_load_b32 v6, v[4:5]
	s_cmp_lg_u64 s[4:5], 0
	s_waitcnt vmcnt(0) lgkmcnt(0)
	v_div_scale_f32 v4, null, v11, v11, v6
	v_div_scale_f32 v8, vcc_lo, v6, v11, v6
	s_delay_alu instid0(VALU_DEP_2) | instskip(SKIP_2) | instid1(VALU_DEP_1)
	v_rcp_f32_e32 v5, v4
	s_waitcnt_depctr 0xfff
	v_fma_f32 v7, -v4, v5, 1.0
	v_fmac_f32_e32 v5, v7, v5
	s_delay_alu instid0(VALU_DEP_1) | instskip(NEXT) | instid1(VALU_DEP_1)
	v_mul_f32_e32 v7, v8, v5
	v_fma_f32 v9, -v4, v7, v8
	s_delay_alu instid0(VALU_DEP_1) | instskip(NEXT) | instid1(VALU_DEP_1)
	v_fmac_f32_e32 v7, v9, v5
	v_fma_f32 v4, -v4, v7, v8
	s_delay_alu instid0(VALU_DEP_1) | instskip(SKIP_2) | instid1(VALU_DEP_3)
	v_div_fmas_f32 v7, v4, v5, v7
	v_add_co_u32 v4, vcc_lo, v2, s6
	v_add_co_ci_u32_e32 v5, vcc_lo, s7, v3, vcc_lo
	v_div_fixup_f32 v6, v7, v11, v6
	global_store_b32 v[4:5], v6, off
	s_cbranch_scc1 .LBB9_168
.LBB9_169:
	s_set_inst_prefetch_distance 0x2
	s_nop 0
	s_sendmsg sendmsg(MSG_DEALLOC_VGPRS)
	s_endpgm
	.section	.rodata,"a",@progbits
	.p2align	6, 0x0
	.amdhsa_kernel _Z21moe_fused_gate_kernelIfLi24ELi192ELi8ELi1EEvPvS0_PfPilllldi
		.amdhsa_group_segment_fixed_size 0
		.amdhsa_private_segment_fixed_size 0
		.amdhsa_kernarg_size 76
		.amdhsa_user_sgpr_count 15
		.amdhsa_user_sgpr_dispatch_ptr 0
		.amdhsa_user_sgpr_queue_ptr 0
		.amdhsa_user_sgpr_kernarg_segment_ptr 1
		.amdhsa_user_sgpr_dispatch_id 0
		.amdhsa_user_sgpr_private_segment_size 0
		.amdhsa_wavefront_size32 1
		.amdhsa_uses_dynamic_stack 0
		.amdhsa_enable_private_segment 0
		.amdhsa_system_sgpr_workgroup_id_x 1
		.amdhsa_system_sgpr_workgroup_id_y 0
		.amdhsa_system_sgpr_workgroup_id_z 0
		.amdhsa_system_sgpr_workgroup_info 0
		.amdhsa_system_vgpr_workitem_id 1
		.amdhsa_next_free_vgpr 80
		.amdhsa_next_free_sgpr 52
		.amdhsa_reserve_vcc 1
		.amdhsa_float_round_mode_32 0
		.amdhsa_float_round_mode_16_64 0
		.amdhsa_float_denorm_mode_32 3
		.amdhsa_float_denorm_mode_16_64 3
		.amdhsa_dx10_clamp 1
		.amdhsa_ieee_mode 1
		.amdhsa_fp16_overflow 0
		.amdhsa_workgroup_processor_mode 1
		.amdhsa_memory_ordered 1
		.amdhsa_forward_progress 0
		.amdhsa_shared_vgpr_count 0
		.amdhsa_exception_fp_ieee_invalid_op 0
		.amdhsa_exception_fp_denorm_src 0
		.amdhsa_exception_fp_ieee_div_zero 0
		.amdhsa_exception_fp_ieee_overflow 0
		.amdhsa_exception_fp_ieee_underflow 0
		.amdhsa_exception_fp_ieee_inexact 0
		.amdhsa_exception_int_div_zero 0
	.end_amdhsa_kernel
	.section	.text._Z21moe_fused_gate_kernelIfLi24ELi192ELi8ELi1EEvPvS0_PfPilllldi,"axG",@progbits,_Z21moe_fused_gate_kernelIfLi24ELi192ELi8ELi1EEvPvS0_PfPilllldi,comdat
.Lfunc_end9:
	.size	_Z21moe_fused_gate_kernelIfLi24ELi192ELi8ELi1EEvPvS0_PfPilllldi, .Lfunc_end9-_Z21moe_fused_gate_kernelIfLi24ELi192ELi8ELi1EEvPvS0_PfPilllldi
                                        ; -- End function
	.section	.AMDGPU.csdata,"",@progbits
; Kernel info:
; codeLenInByte = 10932
; NumSgprs: 54
; NumVgprs: 80
; ScratchSize: 0
; MemoryBound: 1
; FloatMode: 240
; IeeeMode: 1
; LDSByteSize: 0 bytes/workgroup (compile time only)
; SGPRBlocks: 6
; VGPRBlocks: 9
; NumSGPRsForWavesPerEU: 54
; NumVGPRsForWavesPerEU: 80
; Occupancy: 16
; WaveLimiterHint : 0
; COMPUTE_PGM_RSRC2:SCRATCH_EN: 0
; COMPUTE_PGM_RSRC2:USER_SGPR: 15
; COMPUTE_PGM_RSRC2:TRAP_HANDLER: 0
; COMPUTE_PGM_RSRC2:TGID_X_EN: 1
; COMPUTE_PGM_RSRC2:TGID_Y_EN: 0
; COMPUTE_PGM_RSRC2:TGID_Z_EN: 0
; COMPUTE_PGM_RSRC2:TIDIG_COMP_CNT: 1
	.section	.text._Z21moe_fused_gate_kernelItLi32ELi128ELi4ELi1EEvPvS0_PfPilllldi,"axG",@progbits,_Z21moe_fused_gate_kernelItLi32ELi128ELi4ELi1EEvPvS0_PfPilllldi,comdat
	.protected	_Z21moe_fused_gate_kernelItLi32ELi128ELi4ELi1EEvPvS0_PfPilllldi ; -- Begin function _Z21moe_fused_gate_kernelItLi32ELi128ELi4ELi1EEvPvS0_PfPilllldi
	.globl	_Z21moe_fused_gate_kernelItLi32ELi128ELi4ELi1EEvPvS0_PfPilllldi
	.p2align	8
	.type	_Z21moe_fused_gate_kernelItLi32ELi128ELi4ELi1EEvPvS0_PfPilllldi,@function
_Z21moe_fused_gate_kernelItLi32ELi128ELi4ELi1EEvPvS0_PfPilllldi: ; @_Z21moe_fused_gate_kernelItLi32ELi128ELi4ELi1EEvPvS0_PfPilllldi
; %bb.0:
	s_load_b512 s[36:51], s[0:1], 0x0
	v_bfe_u32 v1, v0, 10, 10
	v_and_b32_e32 v41, 0x3ff, v0
	s_mov_b32 s2, exec_lo
	s_delay_alu instid0(VALU_DEP_2) | instskip(NEXT) | instid1(VALU_DEP_2)
	v_dual_mov_b32 v35, 0 :: v_dual_add_nc_u32 v0, s15, v1
	v_lshrrev_b32_e32 v1, 2, v41
	s_delay_alu instid0(VALU_DEP_2) | instskip(NEXT) | instid1(VALU_DEP_2)
	v_mov_b32_e32 v33, v35
	v_lshl_add_u32 v32, v0, 3, v1
	s_waitcnt lgkmcnt(0)
	s_delay_alu instid0(VALU_DEP_1)
	v_cmpx_gt_i64_e64 s[44:45], v[32:33]
	s_cbranch_execz .LBB10_217
; %bb.1:
	v_lshlrev_b64 v[0:1], 8, v[32:33]
	v_and_b32_e32 v34, 3, v41
	s_mov_b32 s2, exec_lo
	s_delay_alu instid0(VALU_DEP_1) | instskip(NEXT) | instid1(VALU_DEP_3)
	v_lshlrev_b32_e32 v12, 6, v34
	v_add_co_u32 v0, vcc_lo, s36, v0
	s_delay_alu instid0(VALU_DEP_4) | instskip(NEXT) | instid1(VALU_DEP_2)
	v_add_co_ci_u32_e32 v1, vcc_lo, s37, v1, vcc_lo
	v_add_co_u32 v0, vcc_lo, v0, v12
	s_delay_alu instid0(VALU_DEP_2)
	v_add_co_ci_u32_e32 v1, vcc_lo, 0, v1, vcc_lo
	s_clause 0x3
	global_load_b128 v[28:31], v[0:1], off
	global_load_b128 v[24:27], v[0:1], off offset:16
	global_load_b128 v[16:19], v[0:1], off offset:48
	;; [unrolled: 1-line block ×3, first 2 shown]
	s_clause 0x3
	global_load_b128 v[0:3], v12, s[38:39] offset:48
	global_load_b128 v[4:7], v12, s[38:39] offset:32
	;; [unrolled: 1-line block ×3, first 2 shown]
	global_load_b128 v[12:15], v12, s[38:39]
	s_waitcnt vmcnt(7)
	v_lshlrev_b32_e32 v36, 16, v28
	s_delay_alu instid0(VALU_DEP_1)
	v_cmpx_o_f32_e32 v36, v36
	s_cbranch_execz .LBB10_3
; %bb.2:
	v_mul_f32_e32 v35, 0xbfb8aa3b, v36
	v_cmp_nlt_f32_e32 vcc_lo, 0x42ce8ed0, v36
	s_delay_alu instid0(VALU_DEP_2) | instskip(SKIP_1) | instid1(VALU_DEP_1)
	v_rndne_f32_e32 v37, v35
	v_fma_f32 v38, 0xbfb8aa3b, v36, -v35
	v_dual_sub_f32 v35, v35, v37 :: v_dual_fmamk_f32 v38, v36, 0xb2a5705f, v38
	v_cvt_i32_f32_e32 v37, v37
	s_delay_alu instid0(VALU_DEP_2) | instskip(NEXT) | instid1(VALU_DEP_1)
	v_add_f32_e32 v35, v35, v38
	v_exp_f32_e32 v35, v35
	s_waitcnt_depctr 0xfff
	v_ldexp_f32 v35, v35, v37
	s_delay_alu instid0(VALU_DEP_1) | instskip(SKIP_1) | instid1(VALU_DEP_2)
	v_cndmask_b32_e32 v35, 0, v35, vcc_lo
	v_cmp_ngt_f32_e32 vcc_lo, 0xc2b17218, v36
	v_cndmask_b32_e32 v35, 0x7f800000, v35, vcc_lo
	s_delay_alu instid0(VALU_DEP_1) | instskip(NEXT) | instid1(VALU_DEP_1)
	v_add_f32_e32 v35, 1.0, v35
	v_div_scale_f32 v36, null, v35, v35, 1.0
	s_delay_alu instid0(VALU_DEP_1) | instskip(SKIP_2) | instid1(VALU_DEP_1)
	v_rcp_f32_e32 v37, v36
	s_waitcnt_depctr 0xfff
	v_fma_f32 v38, -v36, v37, 1.0
	v_fmac_f32_e32 v37, v38, v37
	v_div_scale_f32 v38, vcc_lo, 1.0, v35, 1.0
	s_delay_alu instid0(VALU_DEP_1) | instskip(NEXT) | instid1(VALU_DEP_1)
	v_mul_f32_e32 v39, v38, v37
	v_fma_f32 v40, -v36, v39, v38
	s_delay_alu instid0(VALU_DEP_1) | instskip(NEXT) | instid1(VALU_DEP_1)
	v_fmac_f32_e32 v39, v40, v37
	v_fma_f32 v36, -v36, v39, v38
	s_delay_alu instid0(VALU_DEP_1) | instskip(NEXT) | instid1(VALU_DEP_1)
	v_div_fmas_f32 v36, v36, v37, v39
	v_div_fixup_f32 v35, v36, v35, 1.0
.LBB10_3:
	s_or_b32 exec_lo, exec_lo, s2
	v_dual_mov_b32 v28, 0 :: v_dual_and_b32 v37, 0xffff0000, v28
	v_mov_b32_e32 v36, 0
	s_mov_b32 s2, exec_lo
	s_delay_alu instid0(VALU_DEP_2)
	v_cmpx_o_f32_e32 v37, v37
	s_cbranch_execz .LBB10_5
; %bb.4:
	v_mul_f32_e32 v36, 0xbfb8aa3b, v37
	v_cmp_nlt_f32_e32 vcc_lo, 0x42ce8ed0, v37
	s_delay_alu instid0(VALU_DEP_2) | instskip(SKIP_1) | instid1(VALU_DEP_1)
	v_rndne_f32_e32 v38, v36
	v_fma_f32 v39, 0xbfb8aa3b, v37, -v36
	v_dual_sub_f32 v36, v36, v38 :: v_dual_fmamk_f32 v39, v37, 0xb2a5705f, v39
	v_cvt_i32_f32_e32 v38, v38
	s_delay_alu instid0(VALU_DEP_2) | instskip(NEXT) | instid1(VALU_DEP_1)
	v_add_f32_e32 v36, v36, v39
	v_exp_f32_e32 v36, v36
	s_waitcnt_depctr 0xfff
	v_ldexp_f32 v36, v36, v38
	s_delay_alu instid0(VALU_DEP_1) | instskip(SKIP_1) | instid1(VALU_DEP_2)
	v_cndmask_b32_e32 v36, 0, v36, vcc_lo
	v_cmp_ngt_f32_e32 vcc_lo, 0xc2b17218, v37
	v_cndmask_b32_e32 v36, 0x7f800000, v36, vcc_lo
	s_delay_alu instid0(VALU_DEP_1) | instskip(NEXT) | instid1(VALU_DEP_1)
	v_add_f32_e32 v36, 1.0, v36
	v_div_scale_f32 v37, null, v36, v36, 1.0
	s_delay_alu instid0(VALU_DEP_1) | instskip(SKIP_2) | instid1(VALU_DEP_1)
	v_rcp_f32_e32 v38, v37
	s_waitcnt_depctr 0xfff
	v_fma_f32 v39, -v37, v38, 1.0
	v_fmac_f32_e32 v38, v39, v38
	v_div_scale_f32 v39, vcc_lo, 1.0, v36, 1.0
	s_delay_alu instid0(VALU_DEP_1) | instskip(NEXT) | instid1(VALU_DEP_1)
	v_mul_f32_e32 v40, v39, v38
	v_fma_f32 v42, -v37, v40, v39
	s_delay_alu instid0(VALU_DEP_1) | instskip(NEXT) | instid1(VALU_DEP_1)
	v_fmac_f32_e32 v40, v42, v38
	v_fma_f32 v37, -v37, v40, v39
	s_delay_alu instid0(VALU_DEP_1) | instskip(NEXT) | instid1(VALU_DEP_1)
	v_div_fmas_f32 v37, v37, v38, v40
	v_div_fixup_f32 v36, v37, v36, 1.0
.LBB10_5:
	s_or_b32 exec_lo, exec_lo, s2
	v_lshlrev_b32_e32 v37, 16, v29
	s_mov_b32 s2, exec_lo
	s_delay_alu instid0(VALU_DEP_1)
	v_cmpx_o_f32_e32 v37, v37
	s_cbranch_execz .LBB10_7
; %bb.6:
	v_mul_f32_e32 v28, 0xbfb8aa3b, v37
	v_cmp_nlt_f32_e32 vcc_lo, 0x42ce8ed0, v37
	s_delay_alu instid0(VALU_DEP_2) | instskip(SKIP_1) | instid1(VALU_DEP_1)
	v_rndne_f32_e32 v38, v28
	v_fma_f32 v39, 0xbfb8aa3b, v37, -v28
	v_dual_sub_f32 v28, v28, v38 :: v_dual_fmamk_f32 v39, v37, 0xb2a5705f, v39
	v_cvt_i32_f32_e32 v38, v38
	s_delay_alu instid0(VALU_DEP_2) | instskip(NEXT) | instid1(VALU_DEP_1)
	v_add_f32_e32 v28, v28, v39
	v_exp_f32_e32 v28, v28
	s_waitcnt_depctr 0xfff
	v_ldexp_f32 v28, v28, v38
	s_delay_alu instid0(VALU_DEP_1) | instskip(SKIP_1) | instid1(VALU_DEP_2)
	v_cndmask_b32_e32 v28, 0, v28, vcc_lo
	v_cmp_ngt_f32_e32 vcc_lo, 0xc2b17218, v37
	v_cndmask_b32_e32 v28, 0x7f800000, v28, vcc_lo
	s_delay_alu instid0(VALU_DEP_1) | instskip(NEXT) | instid1(VALU_DEP_1)
	v_add_f32_e32 v28, 1.0, v28
	v_div_scale_f32 v37, null, v28, v28, 1.0
	s_delay_alu instid0(VALU_DEP_1) | instskip(SKIP_2) | instid1(VALU_DEP_1)
	v_rcp_f32_e32 v38, v37
	s_waitcnt_depctr 0xfff
	v_fma_f32 v39, -v37, v38, 1.0
	v_fmac_f32_e32 v38, v39, v38
	v_div_scale_f32 v39, vcc_lo, 1.0, v28, 1.0
	s_delay_alu instid0(VALU_DEP_1) | instskip(NEXT) | instid1(VALU_DEP_1)
	v_mul_f32_e32 v40, v39, v38
	v_fma_f32 v42, -v37, v40, v39
	s_delay_alu instid0(VALU_DEP_1) | instskip(NEXT) | instid1(VALU_DEP_1)
	v_fmac_f32_e32 v40, v42, v38
	v_fma_f32 v37, -v37, v40, v39
	s_delay_alu instid0(VALU_DEP_1) | instskip(NEXT) | instid1(VALU_DEP_1)
	v_div_fmas_f32 v37, v37, v38, v40
	v_div_fixup_f32 v28, v37, v28, 1.0
.LBB10_7:
	s_or_b32 exec_lo, exec_lo, s2
	v_dual_mov_b32 v29, 0 :: v_dual_and_b32 v38, 0xffff0000, v29
	v_mov_b32_e32 v37, 0
	s_mov_b32 s2, exec_lo
	s_delay_alu instid0(VALU_DEP_2)
	v_cmpx_o_f32_e32 v38, v38
	s_cbranch_execz .LBB10_9
; %bb.8:
	v_mul_f32_e32 v37, 0xbfb8aa3b, v38
	v_cmp_nlt_f32_e32 vcc_lo, 0x42ce8ed0, v38
	s_delay_alu instid0(VALU_DEP_2) | instskip(SKIP_1) | instid1(VALU_DEP_1)
	v_rndne_f32_e32 v39, v37
	v_fma_f32 v40, 0xbfb8aa3b, v38, -v37
	v_dual_sub_f32 v37, v37, v39 :: v_dual_fmamk_f32 v40, v38, 0xb2a5705f, v40
	v_cvt_i32_f32_e32 v39, v39
	s_delay_alu instid0(VALU_DEP_2) | instskip(NEXT) | instid1(VALU_DEP_1)
	v_add_f32_e32 v37, v37, v40
	v_exp_f32_e32 v37, v37
	s_waitcnt_depctr 0xfff
	v_ldexp_f32 v37, v37, v39
	s_delay_alu instid0(VALU_DEP_1) | instskip(SKIP_1) | instid1(VALU_DEP_2)
	v_cndmask_b32_e32 v37, 0, v37, vcc_lo
	v_cmp_ngt_f32_e32 vcc_lo, 0xc2b17218, v38
	v_cndmask_b32_e32 v37, 0x7f800000, v37, vcc_lo
	s_delay_alu instid0(VALU_DEP_1) | instskip(NEXT) | instid1(VALU_DEP_1)
	v_add_f32_e32 v37, 1.0, v37
	v_div_scale_f32 v38, null, v37, v37, 1.0
	s_delay_alu instid0(VALU_DEP_1) | instskip(SKIP_2) | instid1(VALU_DEP_1)
	v_rcp_f32_e32 v39, v38
	s_waitcnt_depctr 0xfff
	v_fma_f32 v40, -v38, v39, 1.0
	v_fmac_f32_e32 v39, v40, v39
	v_div_scale_f32 v40, vcc_lo, 1.0, v37, 1.0
	s_delay_alu instid0(VALU_DEP_1) | instskip(NEXT) | instid1(VALU_DEP_1)
	v_mul_f32_e32 v42, v40, v39
	v_fma_f32 v43, -v38, v42, v40
	s_delay_alu instid0(VALU_DEP_1) | instskip(NEXT) | instid1(VALU_DEP_1)
	v_fmac_f32_e32 v42, v43, v39
	v_fma_f32 v38, -v38, v42, v40
	s_delay_alu instid0(VALU_DEP_1) | instskip(NEXT) | instid1(VALU_DEP_1)
	v_div_fmas_f32 v38, v38, v39, v42
	v_div_fixup_f32 v37, v38, v37, 1.0
.LBB10_9:
	s_or_b32 exec_lo, exec_lo, s2
	v_lshlrev_b32_e32 v38, 16, v30
	s_mov_b32 s2, exec_lo
	s_delay_alu instid0(VALU_DEP_1)
	v_cmpx_o_f32_e32 v38, v38
	s_cbranch_execz .LBB10_11
; %bb.10:
	v_mul_f32_e32 v29, 0xbfb8aa3b, v38
	v_cmp_nlt_f32_e32 vcc_lo, 0x42ce8ed0, v38
	s_delay_alu instid0(VALU_DEP_2) | instskip(SKIP_1) | instid1(VALU_DEP_1)
	v_rndne_f32_e32 v39, v29
	v_fma_f32 v40, 0xbfb8aa3b, v38, -v29
	v_dual_sub_f32 v29, v29, v39 :: v_dual_fmamk_f32 v40, v38, 0xb2a5705f, v40
	v_cvt_i32_f32_e32 v39, v39
	s_delay_alu instid0(VALU_DEP_2) | instskip(NEXT) | instid1(VALU_DEP_1)
	v_add_f32_e32 v29, v29, v40
	v_exp_f32_e32 v29, v29
	s_waitcnt_depctr 0xfff
	v_ldexp_f32 v29, v29, v39
	s_delay_alu instid0(VALU_DEP_1) | instskip(SKIP_1) | instid1(VALU_DEP_2)
	v_cndmask_b32_e32 v29, 0, v29, vcc_lo
	v_cmp_ngt_f32_e32 vcc_lo, 0xc2b17218, v38
	v_cndmask_b32_e32 v29, 0x7f800000, v29, vcc_lo
	s_delay_alu instid0(VALU_DEP_1) | instskip(NEXT) | instid1(VALU_DEP_1)
	v_add_f32_e32 v29, 1.0, v29
	v_div_scale_f32 v38, null, v29, v29, 1.0
	s_delay_alu instid0(VALU_DEP_1) | instskip(SKIP_2) | instid1(VALU_DEP_1)
	v_rcp_f32_e32 v39, v38
	s_waitcnt_depctr 0xfff
	v_fma_f32 v40, -v38, v39, 1.0
	v_fmac_f32_e32 v39, v40, v39
	v_div_scale_f32 v40, vcc_lo, 1.0, v29, 1.0
	s_delay_alu instid0(VALU_DEP_1) | instskip(NEXT) | instid1(VALU_DEP_1)
	v_mul_f32_e32 v42, v40, v39
	v_fma_f32 v43, -v38, v42, v40
	s_delay_alu instid0(VALU_DEP_1) | instskip(NEXT) | instid1(VALU_DEP_1)
	v_fmac_f32_e32 v42, v43, v39
	v_fma_f32 v38, -v38, v42, v40
	s_delay_alu instid0(VALU_DEP_1) | instskip(NEXT) | instid1(VALU_DEP_1)
	v_div_fmas_f32 v38, v38, v39, v42
	v_div_fixup_f32 v29, v38, v29, 1.0
.LBB10_11:
	s_or_b32 exec_lo, exec_lo, s2
	v_dual_mov_b32 v30, 0 :: v_dual_and_b32 v39, 0xffff0000, v30
	v_mov_b32_e32 v38, 0
	s_mov_b32 s2, exec_lo
	s_delay_alu instid0(VALU_DEP_2)
	v_cmpx_o_f32_e32 v39, v39
	s_cbranch_execz .LBB10_13
; %bb.12:
	v_mul_f32_e32 v38, 0xbfb8aa3b, v39
	v_cmp_nlt_f32_e32 vcc_lo, 0x42ce8ed0, v39
	s_delay_alu instid0(VALU_DEP_2) | instskip(SKIP_1) | instid1(VALU_DEP_2)
	v_rndne_f32_e32 v40, v38
	v_fma_f32 v42, 0xbfb8aa3b, v39, -v38
	v_sub_f32_e32 v38, v38, v40
	s_delay_alu instid0(VALU_DEP_2) | instskip(SKIP_1) | instid1(VALU_DEP_2)
	v_fmamk_f32 v42, v39, 0xb2a5705f, v42
	v_cvt_i32_f32_e32 v40, v40
	v_add_f32_e32 v38, v38, v42
	s_delay_alu instid0(VALU_DEP_1) | instskip(SKIP_2) | instid1(VALU_DEP_1)
	v_exp_f32_e32 v38, v38
	s_waitcnt_depctr 0xfff
	v_ldexp_f32 v38, v38, v40
	v_cndmask_b32_e32 v38, 0, v38, vcc_lo
	v_cmp_ngt_f32_e32 vcc_lo, 0xc2b17218, v39
	s_delay_alu instid0(VALU_DEP_2) | instskip(NEXT) | instid1(VALU_DEP_1)
	v_cndmask_b32_e32 v38, 0x7f800000, v38, vcc_lo
	v_add_f32_e32 v38, 1.0, v38
	s_delay_alu instid0(VALU_DEP_1) | instskip(NEXT) | instid1(VALU_DEP_1)
	v_div_scale_f32 v39, null, v38, v38, 1.0
	v_rcp_f32_e32 v40, v39
	s_waitcnt_depctr 0xfff
	v_fma_f32 v42, -v39, v40, 1.0
	s_delay_alu instid0(VALU_DEP_1) | instskip(SKIP_1) | instid1(VALU_DEP_1)
	v_fmac_f32_e32 v40, v42, v40
	v_div_scale_f32 v42, vcc_lo, 1.0, v38, 1.0
	v_mul_f32_e32 v43, v42, v40
	s_delay_alu instid0(VALU_DEP_1) | instskip(NEXT) | instid1(VALU_DEP_1)
	v_fma_f32 v44, -v39, v43, v42
	v_fmac_f32_e32 v43, v44, v40
	s_delay_alu instid0(VALU_DEP_1) | instskip(NEXT) | instid1(VALU_DEP_1)
	v_fma_f32 v39, -v39, v43, v42
	v_div_fmas_f32 v39, v39, v40, v43
	s_delay_alu instid0(VALU_DEP_1)
	v_div_fixup_f32 v38, v39, v38, 1.0
.LBB10_13:
	s_or_b32 exec_lo, exec_lo, s2
	v_lshlrev_b32_e32 v39, 16, v31
	s_mov_b32 s2, exec_lo
	s_delay_alu instid0(VALU_DEP_1)
	v_cmpx_o_f32_e32 v39, v39
	s_cbranch_execz .LBB10_15
; %bb.14:
	v_mul_f32_e32 v30, 0xbfb8aa3b, v39
	v_cmp_nlt_f32_e32 vcc_lo, 0x42ce8ed0, v39
	s_delay_alu instid0(VALU_DEP_2) | instskip(SKIP_1) | instid1(VALU_DEP_2)
	v_rndne_f32_e32 v40, v30
	v_fma_f32 v42, 0xbfb8aa3b, v39, -v30
	v_sub_f32_e32 v30, v30, v40
	s_delay_alu instid0(VALU_DEP_2) | instskip(SKIP_1) | instid1(VALU_DEP_2)
	v_fmamk_f32 v42, v39, 0xb2a5705f, v42
	v_cvt_i32_f32_e32 v40, v40
	v_add_f32_e32 v30, v30, v42
	s_delay_alu instid0(VALU_DEP_1) | instskip(SKIP_2) | instid1(VALU_DEP_1)
	v_exp_f32_e32 v30, v30
	s_waitcnt_depctr 0xfff
	v_ldexp_f32 v30, v30, v40
	v_cndmask_b32_e32 v30, 0, v30, vcc_lo
	v_cmp_ngt_f32_e32 vcc_lo, 0xc2b17218, v39
	s_delay_alu instid0(VALU_DEP_2) | instskip(NEXT) | instid1(VALU_DEP_1)
	v_cndmask_b32_e32 v30, 0x7f800000, v30, vcc_lo
	v_add_f32_e32 v30, 1.0, v30
	s_delay_alu instid0(VALU_DEP_1) | instskip(NEXT) | instid1(VALU_DEP_1)
	v_div_scale_f32 v39, null, v30, v30, 1.0
	v_rcp_f32_e32 v40, v39
	s_waitcnt_depctr 0xfff
	v_fma_f32 v42, -v39, v40, 1.0
	s_delay_alu instid0(VALU_DEP_1) | instskip(SKIP_1) | instid1(VALU_DEP_1)
	v_fmac_f32_e32 v40, v42, v40
	v_div_scale_f32 v42, vcc_lo, 1.0, v30, 1.0
	v_mul_f32_e32 v43, v42, v40
	s_delay_alu instid0(VALU_DEP_1) | instskip(NEXT) | instid1(VALU_DEP_1)
	v_fma_f32 v44, -v39, v43, v42
	v_fmac_f32_e32 v43, v44, v40
	s_delay_alu instid0(VALU_DEP_1) | instskip(NEXT) | instid1(VALU_DEP_1)
	v_fma_f32 v39, -v39, v43, v42
	v_div_fmas_f32 v39, v39, v40, v43
	s_delay_alu instid0(VALU_DEP_1)
	v_div_fixup_f32 v30, v39, v30, 1.0
.LBB10_15:
	s_or_b32 exec_lo, exec_lo, s2
	v_dual_mov_b32 v31, 0 :: v_dual_and_b32 v40, 0xffff0000, v31
	v_mov_b32_e32 v39, 0
	s_mov_b32 s2, exec_lo
	s_delay_alu instid0(VALU_DEP_2)
	v_cmpx_o_f32_e32 v40, v40
	s_cbranch_execz .LBB10_17
; %bb.16:
	v_mul_f32_e32 v39, 0xbfb8aa3b, v40
	v_cmp_nlt_f32_e32 vcc_lo, 0x42ce8ed0, v40
	s_delay_alu instid0(VALU_DEP_2) | instskip(SKIP_1) | instid1(VALU_DEP_2)
	v_rndne_f32_e32 v42, v39
	v_fma_f32 v43, 0xbfb8aa3b, v40, -v39
	v_sub_f32_e32 v39, v39, v42
	s_delay_alu instid0(VALU_DEP_2) | instskip(SKIP_1) | instid1(VALU_DEP_2)
	v_fmamk_f32 v43, v40, 0xb2a5705f, v43
	v_cvt_i32_f32_e32 v42, v42
	v_add_f32_e32 v39, v39, v43
	s_delay_alu instid0(VALU_DEP_1) | instskip(SKIP_2) | instid1(VALU_DEP_1)
	v_exp_f32_e32 v39, v39
	s_waitcnt_depctr 0xfff
	v_ldexp_f32 v39, v39, v42
	v_cndmask_b32_e32 v39, 0, v39, vcc_lo
	v_cmp_ngt_f32_e32 vcc_lo, 0xc2b17218, v40
	s_delay_alu instid0(VALU_DEP_2) | instskip(NEXT) | instid1(VALU_DEP_1)
	v_cndmask_b32_e32 v39, 0x7f800000, v39, vcc_lo
	v_add_f32_e32 v39, 1.0, v39
	s_delay_alu instid0(VALU_DEP_1) | instskip(NEXT) | instid1(VALU_DEP_1)
	v_div_scale_f32 v40, null, v39, v39, 1.0
	v_rcp_f32_e32 v42, v40
	s_waitcnt_depctr 0xfff
	v_fma_f32 v43, -v40, v42, 1.0
	s_delay_alu instid0(VALU_DEP_1) | instskip(SKIP_1) | instid1(VALU_DEP_1)
	v_fmac_f32_e32 v42, v43, v42
	v_div_scale_f32 v43, vcc_lo, 1.0, v39, 1.0
	v_mul_f32_e32 v44, v43, v42
	s_delay_alu instid0(VALU_DEP_1) | instskip(NEXT) | instid1(VALU_DEP_1)
	v_fma_f32 v45, -v40, v44, v43
	v_fmac_f32_e32 v44, v45, v42
	s_delay_alu instid0(VALU_DEP_1) | instskip(NEXT) | instid1(VALU_DEP_1)
	v_fma_f32 v40, -v40, v44, v43
	v_div_fmas_f32 v40, v40, v42, v44
	s_delay_alu instid0(VALU_DEP_1)
	v_div_fixup_f32 v39, v40, v39, 1.0
.LBB10_17:
	s_or_b32 exec_lo, exec_lo, s2
	s_waitcnt vmcnt(6)
	v_lshlrev_b32_e32 v40, 16, v24
	s_mov_b32 s2, exec_lo
	s_delay_alu instid0(VALU_DEP_1)
	v_cmpx_o_f32_e32 v40, v40
	s_cbranch_execz .LBB10_19
; %bb.18:
	v_mul_f32_e32 v31, 0xbfb8aa3b, v40
	v_cmp_nlt_f32_e32 vcc_lo, 0x42ce8ed0, v40
	s_delay_alu instid0(VALU_DEP_2) | instskip(SKIP_1) | instid1(VALU_DEP_2)
	v_rndne_f32_e32 v42, v31
	v_fma_f32 v43, 0xbfb8aa3b, v40, -v31
	v_sub_f32_e32 v31, v31, v42
	s_delay_alu instid0(VALU_DEP_2) | instskip(SKIP_1) | instid1(VALU_DEP_2)
	v_fmamk_f32 v43, v40, 0xb2a5705f, v43
	v_cvt_i32_f32_e32 v42, v42
	v_add_f32_e32 v31, v31, v43
	s_delay_alu instid0(VALU_DEP_1) | instskip(SKIP_2) | instid1(VALU_DEP_1)
	v_exp_f32_e32 v31, v31
	s_waitcnt_depctr 0xfff
	v_ldexp_f32 v31, v31, v42
	v_cndmask_b32_e32 v31, 0, v31, vcc_lo
	v_cmp_ngt_f32_e32 vcc_lo, 0xc2b17218, v40
	s_delay_alu instid0(VALU_DEP_2) | instskip(NEXT) | instid1(VALU_DEP_1)
	v_cndmask_b32_e32 v31, 0x7f800000, v31, vcc_lo
	v_add_f32_e32 v31, 1.0, v31
	s_delay_alu instid0(VALU_DEP_1) | instskip(NEXT) | instid1(VALU_DEP_1)
	v_div_scale_f32 v40, null, v31, v31, 1.0
	v_rcp_f32_e32 v42, v40
	s_waitcnt_depctr 0xfff
	v_fma_f32 v43, -v40, v42, 1.0
	s_delay_alu instid0(VALU_DEP_1) | instskip(SKIP_1) | instid1(VALU_DEP_1)
	v_fmac_f32_e32 v42, v43, v42
	v_div_scale_f32 v43, vcc_lo, 1.0, v31, 1.0
	v_mul_f32_e32 v44, v43, v42
	s_delay_alu instid0(VALU_DEP_1) | instskip(NEXT) | instid1(VALU_DEP_1)
	v_fma_f32 v45, -v40, v44, v43
	v_fmac_f32_e32 v44, v45, v42
	s_delay_alu instid0(VALU_DEP_1) | instskip(NEXT) | instid1(VALU_DEP_1)
	v_fma_f32 v40, -v40, v44, v43
	v_div_fmas_f32 v40, v40, v42, v44
	s_delay_alu instid0(VALU_DEP_1)
	v_div_fixup_f32 v31, v40, v31, 1.0
.LBB10_19:
	s_or_b32 exec_lo, exec_lo, s2
	v_and_b32_e32 v42, 0xffff0000, v24
	v_mov_b32_e32 v24, 0
	v_mov_b32_e32 v40, 0
	s_mov_b32 s2, exec_lo
	s_delay_alu instid0(VALU_DEP_3)
	v_cmpx_o_f32_e32 v42, v42
	s_cbranch_execz .LBB10_21
; %bb.20:
	v_mul_f32_e32 v40, 0xbfb8aa3b, v42
	v_cmp_nlt_f32_e32 vcc_lo, 0x42ce8ed0, v42
	s_delay_alu instid0(VALU_DEP_2) | instskip(SKIP_1) | instid1(VALU_DEP_2)
	v_rndne_f32_e32 v43, v40
	v_fma_f32 v44, 0xbfb8aa3b, v42, -v40
	v_sub_f32_e32 v40, v40, v43
	s_delay_alu instid0(VALU_DEP_2) | instskip(SKIP_1) | instid1(VALU_DEP_2)
	v_fmamk_f32 v44, v42, 0xb2a5705f, v44
	v_cvt_i32_f32_e32 v43, v43
	v_add_f32_e32 v40, v40, v44
	s_delay_alu instid0(VALU_DEP_1) | instskip(SKIP_2) | instid1(VALU_DEP_1)
	v_exp_f32_e32 v40, v40
	s_waitcnt_depctr 0xfff
	v_ldexp_f32 v40, v40, v43
	v_cndmask_b32_e32 v40, 0, v40, vcc_lo
	v_cmp_ngt_f32_e32 vcc_lo, 0xc2b17218, v42
	s_delay_alu instid0(VALU_DEP_2) | instskip(NEXT) | instid1(VALU_DEP_1)
	v_cndmask_b32_e32 v40, 0x7f800000, v40, vcc_lo
	v_add_f32_e32 v40, 1.0, v40
	s_delay_alu instid0(VALU_DEP_1) | instskip(NEXT) | instid1(VALU_DEP_1)
	v_div_scale_f32 v42, null, v40, v40, 1.0
	v_rcp_f32_e32 v43, v42
	s_waitcnt_depctr 0xfff
	v_fma_f32 v44, -v42, v43, 1.0
	s_delay_alu instid0(VALU_DEP_1) | instskip(SKIP_1) | instid1(VALU_DEP_1)
	v_fmac_f32_e32 v43, v44, v43
	v_div_scale_f32 v44, vcc_lo, 1.0, v40, 1.0
	v_mul_f32_e32 v45, v44, v43
	s_delay_alu instid0(VALU_DEP_1) | instskip(NEXT) | instid1(VALU_DEP_1)
	v_fma_f32 v46, -v42, v45, v44
	v_fmac_f32_e32 v45, v46, v43
	s_delay_alu instid0(VALU_DEP_1) | instskip(NEXT) | instid1(VALU_DEP_1)
	v_fma_f32 v42, -v42, v45, v44
	v_div_fmas_f32 v42, v42, v43, v45
	s_delay_alu instid0(VALU_DEP_1)
	v_div_fixup_f32 v40, v42, v40, 1.0
.LBB10_21:
	s_or_b32 exec_lo, exec_lo, s2
	v_lshlrev_b32_e32 v42, 16, v25
	s_mov_b32 s2, exec_lo
	s_delay_alu instid0(VALU_DEP_1)
	v_cmpx_o_f32_e32 v42, v42
	s_cbranch_execz .LBB10_23
; %bb.22:
	v_mul_f32_e32 v24, 0xbfb8aa3b, v42
	v_cmp_nlt_f32_e32 vcc_lo, 0x42ce8ed0, v42
	s_delay_alu instid0(VALU_DEP_2) | instskip(SKIP_1) | instid1(VALU_DEP_2)
	v_rndne_f32_e32 v43, v24
	v_fma_f32 v44, 0xbfb8aa3b, v42, -v24
	v_sub_f32_e32 v24, v24, v43
	s_delay_alu instid0(VALU_DEP_2) | instskip(SKIP_1) | instid1(VALU_DEP_2)
	v_fmamk_f32 v44, v42, 0xb2a5705f, v44
	v_cvt_i32_f32_e32 v43, v43
	v_add_f32_e32 v24, v24, v44
	s_delay_alu instid0(VALU_DEP_1) | instskip(SKIP_2) | instid1(VALU_DEP_1)
	v_exp_f32_e32 v24, v24
	s_waitcnt_depctr 0xfff
	v_ldexp_f32 v24, v24, v43
	v_cndmask_b32_e32 v24, 0, v24, vcc_lo
	v_cmp_ngt_f32_e32 vcc_lo, 0xc2b17218, v42
	s_delay_alu instid0(VALU_DEP_2) | instskip(NEXT) | instid1(VALU_DEP_1)
	v_cndmask_b32_e32 v24, 0x7f800000, v24, vcc_lo
	v_add_f32_e32 v24, 1.0, v24
	s_delay_alu instid0(VALU_DEP_1) | instskip(NEXT) | instid1(VALU_DEP_1)
	v_div_scale_f32 v42, null, v24, v24, 1.0
	v_rcp_f32_e32 v43, v42
	s_waitcnt_depctr 0xfff
	v_fma_f32 v44, -v42, v43, 1.0
	s_delay_alu instid0(VALU_DEP_1) | instskip(SKIP_1) | instid1(VALU_DEP_1)
	v_fmac_f32_e32 v43, v44, v43
	v_div_scale_f32 v44, vcc_lo, 1.0, v24, 1.0
	v_mul_f32_e32 v45, v44, v43
	s_delay_alu instid0(VALU_DEP_1) | instskip(NEXT) | instid1(VALU_DEP_1)
	v_fma_f32 v46, -v42, v45, v44
	v_fmac_f32_e32 v45, v46, v43
	s_delay_alu instid0(VALU_DEP_1) | instskip(NEXT) | instid1(VALU_DEP_1)
	v_fma_f32 v42, -v42, v45, v44
	v_div_fmas_f32 v42, v42, v43, v45
	s_delay_alu instid0(VALU_DEP_1)
	v_div_fixup_f32 v24, v42, v24, 1.0
.LBB10_23:
	s_or_b32 exec_lo, exec_lo, s2
	v_dual_mov_b32 v42, 0 :: v_dual_and_b32 v43, 0xffff0000, v25
	v_mov_b32_e32 v25, 0
	s_mov_b32 s2, exec_lo
	s_delay_alu instid0(VALU_DEP_2)
	v_cmpx_o_f32_e32 v43, v43
	s_cbranch_execz .LBB10_25
; %bb.24:
	v_mul_f32_e32 v42, 0xbfb8aa3b, v43
	v_cmp_nlt_f32_e32 vcc_lo, 0x42ce8ed0, v43
	s_delay_alu instid0(VALU_DEP_2) | instskip(SKIP_1) | instid1(VALU_DEP_1)
	v_rndne_f32_e32 v44, v42
	v_fma_f32 v45, 0xbfb8aa3b, v43, -v42
	v_dual_sub_f32 v42, v42, v44 :: v_dual_fmamk_f32 v45, v43, 0xb2a5705f, v45
	v_cvt_i32_f32_e32 v44, v44
	s_delay_alu instid0(VALU_DEP_2) | instskip(NEXT) | instid1(VALU_DEP_1)
	v_add_f32_e32 v42, v42, v45
	v_exp_f32_e32 v42, v42
	s_waitcnt_depctr 0xfff
	v_ldexp_f32 v42, v42, v44
	s_delay_alu instid0(VALU_DEP_1) | instskip(SKIP_1) | instid1(VALU_DEP_2)
	v_cndmask_b32_e32 v42, 0, v42, vcc_lo
	v_cmp_ngt_f32_e32 vcc_lo, 0xc2b17218, v43
	v_cndmask_b32_e32 v42, 0x7f800000, v42, vcc_lo
	s_delay_alu instid0(VALU_DEP_1) | instskip(NEXT) | instid1(VALU_DEP_1)
	v_add_f32_e32 v42, 1.0, v42
	v_div_scale_f32 v43, null, v42, v42, 1.0
	s_delay_alu instid0(VALU_DEP_1) | instskip(SKIP_2) | instid1(VALU_DEP_1)
	v_rcp_f32_e32 v44, v43
	s_waitcnt_depctr 0xfff
	v_fma_f32 v45, -v43, v44, 1.0
	v_fmac_f32_e32 v44, v45, v44
	v_div_scale_f32 v45, vcc_lo, 1.0, v42, 1.0
	s_delay_alu instid0(VALU_DEP_1) | instskip(NEXT) | instid1(VALU_DEP_1)
	v_mul_f32_e32 v46, v45, v44
	v_fma_f32 v47, -v43, v46, v45
	s_delay_alu instid0(VALU_DEP_1) | instskip(NEXT) | instid1(VALU_DEP_1)
	v_fmac_f32_e32 v46, v47, v44
	v_fma_f32 v43, -v43, v46, v45
	s_delay_alu instid0(VALU_DEP_1) | instskip(NEXT) | instid1(VALU_DEP_1)
	v_div_fmas_f32 v43, v43, v44, v46
	v_div_fixup_f32 v42, v43, v42, 1.0
.LBB10_25:
	s_or_b32 exec_lo, exec_lo, s2
	v_lshlrev_b32_e32 v43, 16, v26
	s_mov_b32 s2, exec_lo
	s_delay_alu instid0(VALU_DEP_1)
	v_cmpx_o_f32_e32 v43, v43
	s_cbranch_execz .LBB10_27
; %bb.26:
	v_mul_f32_e32 v25, 0xbfb8aa3b, v43
	v_cmp_nlt_f32_e32 vcc_lo, 0x42ce8ed0, v43
	s_delay_alu instid0(VALU_DEP_2) | instskip(SKIP_1) | instid1(VALU_DEP_2)
	v_rndne_f32_e32 v44, v25
	v_fma_f32 v45, 0xbfb8aa3b, v43, -v25
	v_sub_f32_e32 v25, v25, v44
	s_delay_alu instid0(VALU_DEP_2) | instskip(SKIP_1) | instid1(VALU_DEP_2)
	v_fmamk_f32 v45, v43, 0xb2a5705f, v45
	v_cvt_i32_f32_e32 v44, v44
	v_add_f32_e32 v25, v25, v45
	s_delay_alu instid0(VALU_DEP_1) | instskip(SKIP_2) | instid1(VALU_DEP_1)
	v_exp_f32_e32 v25, v25
	s_waitcnt_depctr 0xfff
	v_ldexp_f32 v25, v25, v44
	v_cndmask_b32_e32 v25, 0, v25, vcc_lo
	v_cmp_ngt_f32_e32 vcc_lo, 0xc2b17218, v43
	s_delay_alu instid0(VALU_DEP_2) | instskip(NEXT) | instid1(VALU_DEP_1)
	v_cndmask_b32_e32 v25, 0x7f800000, v25, vcc_lo
	v_add_f32_e32 v25, 1.0, v25
	s_delay_alu instid0(VALU_DEP_1) | instskip(NEXT) | instid1(VALU_DEP_1)
	v_div_scale_f32 v43, null, v25, v25, 1.0
	v_rcp_f32_e32 v44, v43
	s_waitcnt_depctr 0xfff
	v_fma_f32 v45, -v43, v44, 1.0
	s_delay_alu instid0(VALU_DEP_1) | instskip(SKIP_1) | instid1(VALU_DEP_1)
	v_fmac_f32_e32 v44, v45, v44
	v_div_scale_f32 v45, vcc_lo, 1.0, v25, 1.0
	v_mul_f32_e32 v46, v45, v44
	s_delay_alu instid0(VALU_DEP_1) | instskip(NEXT) | instid1(VALU_DEP_1)
	v_fma_f32 v47, -v43, v46, v45
	v_fmac_f32_e32 v46, v47, v44
	s_delay_alu instid0(VALU_DEP_1) | instskip(NEXT) | instid1(VALU_DEP_1)
	v_fma_f32 v43, -v43, v46, v45
	v_div_fmas_f32 v43, v43, v44, v46
	s_delay_alu instid0(VALU_DEP_1)
	v_div_fixup_f32 v25, v43, v25, 1.0
.LBB10_27:
	s_or_b32 exec_lo, exec_lo, s2
	v_dual_mov_b32 v43, 0 :: v_dual_and_b32 v44, 0xffff0000, v26
	v_mov_b32_e32 v26, 0
	s_mov_b32 s2, exec_lo
	s_delay_alu instid0(VALU_DEP_2)
	v_cmpx_o_f32_e32 v44, v44
	s_cbranch_execz .LBB10_29
; %bb.28:
	v_mul_f32_e32 v43, 0xbfb8aa3b, v44
	v_cmp_nlt_f32_e32 vcc_lo, 0x42ce8ed0, v44
	s_delay_alu instid0(VALU_DEP_2) | instskip(SKIP_1) | instid1(VALU_DEP_1)
	v_rndne_f32_e32 v45, v43
	v_fma_f32 v46, 0xbfb8aa3b, v44, -v43
	v_dual_sub_f32 v43, v43, v45 :: v_dual_fmamk_f32 v46, v44, 0xb2a5705f, v46
	v_cvt_i32_f32_e32 v45, v45
	s_delay_alu instid0(VALU_DEP_2) | instskip(NEXT) | instid1(VALU_DEP_1)
	v_add_f32_e32 v43, v43, v46
	v_exp_f32_e32 v43, v43
	s_waitcnt_depctr 0xfff
	v_ldexp_f32 v43, v43, v45
	s_delay_alu instid0(VALU_DEP_1) | instskip(SKIP_1) | instid1(VALU_DEP_2)
	v_cndmask_b32_e32 v43, 0, v43, vcc_lo
	v_cmp_ngt_f32_e32 vcc_lo, 0xc2b17218, v44
	v_cndmask_b32_e32 v43, 0x7f800000, v43, vcc_lo
	s_delay_alu instid0(VALU_DEP_1) | instskip(NEXT) | instid1(VALU_DEP_1)
	v_add_f32_e32 v43, 1.0, v43
	v_div_scale_f32 v44, null, v43, v43, 1.0
	s_delay_alu instid0(VALU_DEP_1) | instskip(SKIP_2) | instid1(VALU_DEP_1)
	v_rcp_f32_e32 v45, v44
	s_waitcnt_depctr 0xfff
	v_fma_f32 v46, -v44, v45, 1.0
	v_fmac_f32_e32 v45, v46, v45
	v_div_scale_f32 v46, vcc_lo, 1.0, v43, 1.0
	s_delay_alu instid0(VALU_DEP_1) | instskip(NEXT) | instid1(VALU_DEP_1)
	v_mul_f32_e32 v47, v46, v45
	v_fma_f32 v48, -v44, v47, v46
	s_delay_alu instid0(VALU_DEP_1) | instskip(NEXT) | instid1(VALU_DEP_1)
	v_fmac_f32_e32 v47, v48, v45
	v_fma_f32 v44, -v44, v47, v46
	s_delay_alu instid0(VALU_DEP_1) | instskip(NEXT) | instid1(VALU_DEP_1)
	v_div_fmas_f32 v44, v44, v45, v47
	v_div_fixup_f32 v43, v44, v43, 1.0
.LBB10_29:
	s_or_b32 exec_lo, exec_lo, s2
	v_lshlrev_b32_e32 v44, 16, v27
	s_mov_b32 s2, exec_lo
	s_delay_alu instid0(VALU_DEP_1)
	v_cmpx_o_f32_e32 v44, v44
	s_cbranch_execz .LBB10_31
; %bb.30:
	v_mul_f32_e32 v26, 0xbfb8aa3b, v44
	v_cmp_nlt_f32_e32 vcc_lo, 0x42ce8ed0, v44
	s_delay_alu instid0(VALU_DEP_2) | instskip(SKIP_1) | instid1(VALU_DEP_2)
	v_rndne_f32_e32 v45, v26
	v_fma_f32 v46, 0xbfb8aa3b, v44, -v26
	v_sub_f32_e32 v26, v26, v45
	s_delay_alu instid0(VALU_DEP_2) | instskip(SKIP_1) | instid1(VALU_DEP_2)
	v_fmamk_f32 v46, v44, 0xb2a5705f, v46
	v_cvt_i32_f32_e32 v45, v45
	v_add_f32_e32 v26, v26, v46
	s_delay_alu instid0(VALU_DEP_1) | instskip(SKIP_2) | instid1(VALU_DEP_1)
	v_exp_f32_e32 v26, v26
	s_waitcnt_depctr 0xfff
	v_ldexp_f32 v26, v26, v45
	v_cndmask_b32_e32 v26, 0, v26, vcc_lo
	v_cmp_ngt_f32_e32 vcc_lo, 0xc2b17218, v44
	s_delay_alu instid0(VALU_DEP_2) | instskip(NEXT) | instid1(VALU_DEP_1)
	v_cndmask_b32_e32 v26, 0x7f800000, v26, vcc_lo
	v_add_f32_e32 v26, 1.0, v26
	s_delay_alu instid0(VALU_DEP_1) | instskip(NEXT) | instid1(VALU_DEP_1)
	v_div_scale_f32 v44, null, v26, v26, 1.0
	v_rcp_f32_e32 v45, v44
	s_waitcnt_depctr 0xfff
	v_fma_f32 v46, -v44, v45, 1.0
	s_delay_alu instid0(VALU_DEP_1) | instskip(SKIP_1) | instid1(VALU_DEP_1)
	v_fmac_f32_e32 v45, v46, v45
	v_div_scale_f32 v46, vcc_lo, 1.0, v26, 1.0
	v_mul_f32_e32 v47, v46, v45
	s_delay_alu instid0(VALU_DEP_1) | instskip(NEXT) | instid1(VALU_DEP_1)
	v_fma_f32 v48, -v44, v47, v46
	v_fmac_f32_e32 v47, v48, v45
	s_delay_alu instid0(VALU_DEP_1) | instskip(NEXT) | instid1(VALU_DEP_1)
	v_fma_f32 v44, -v44, v47, v46
	v_div_fmas_f32 v44, v44, v45, v47
	s_delay_alu instid0(VALU_DEP_1)
	v_div_fixup_f32 v26, v44, v26, 1.0
.LBB10_31:
	s_or_b32 exec_lo, exec_lo, s2
	v_dual_mov_b32 v44, 0 :: v_dual_and_b32 v45, 0xffff0000, v27
	v_mov_b32_e32 v27, 0
	s_mov_b32 s2, exec_lo
	s_delay_alu instid0(VALU_DEP_2)
	v_cmpx_o_f32_e32 v45, v45
	s_cbranch_execz .LBB10_33
; %bb.32:
	v_mul_f32_e32 v44, 0xbfb8aa3b, v45
	v_cmp_nlt_f32_e32 vcc_lo, 0x42ce8ed0, v45
	s_delay_alu instid0(VALU_DEP_2) | instskip(SKIP_1) | instid1(VALU_DEP_1)
	v_rndne_f32_e32 v46, v44
	v_fma_f32 v47, 0xbfb8aa3b, v45, -v44
	v_dual_sub_f32 v44, v44, v46 :: v_dual_fmamk_f32 v47, v45, 0xb2a5705f, v47
	v_cvt_i32_f32_e32 v46, v46
	s_delay_alu instid0(VALU_DEP_2) | instskip(NEXT) | instid1(VALU_DEP_1)
	v_add_f32_e32 v44, v44, v47
	v_exp_f32_e32 v44, v44
	s_waitcnt_depctr 0xfff
	v_ldexp_f32 v44, v44, v46
	s_delay_alu instid0(VALU_DEP_1) | instskip(SKIP_1) | instid1(VALU_DEP_2)
	v_cndmask_b32_e32 v44, 0, v44, vcc_lo
	v_cmp_ngt_f32_e32 vcc_lo, 0xc2b17218, v45
	v_cndmask_b32_e32 v44, 0x7f800000, v44, vcc_lo
	s_delay_alu instid0(VALU_DEP_1) | instskip(NEXT) | instid1(VALU_DEP_1)
	v_add_f32_e32 v44, 1.0, v44
	v_div_scale_f32 v45, null, v44, v44, 1.0
	s_delay_alu instid0(VALU_DEP_1) | instskip(SKIP_2) | instid1(VALU_DEP_1)
	v_rcp_f32_e32 v46, v45
	s_waitcnt_depctr 0xfff
	v_fma_f32 v47, -v45, v46, 1.0
	v_fmac_f32_e32 v46, v47, v46
	v_div_scale_f32 v47, vcc_lo, 1.0, v44, 1.0
	s_delay_alu instid0(VALU_DEP_1) | instskip(NEXT) | instid1(VALU_DEP_1)
	v_mul_f32_e32 v48, v47, v46
	v_fma_f32 v49, -v45, v48, v47
	s_delay_alu instid0(VALU_DEP_1) | instskip(NEXT) | instid1(VALU_DEP_1)
	v_fmac_f32_e32 v48, v49, v46
	v_fma_f32 v45, -v45, v48, v47
	s_delay_alu instid0(VALU_DEP_1) | instskip(NEXT) | instid1(VALU_DEP_1)
	v_div_fmas_f32 v45, v45, v46, v48
	v_div_fixup_f32 v44, v45, v44, 1.0
.LBB10_33:
	s_or_b32 exec_lo, exec_lo, s2
	s_waitcnt vmcnt(4)
	v_lshlrev_b32_e32 v45, 16, v20
	s_mov_b32 s2, exec_lo
	s_delay_alu instid0(VALU_DEP_1)
	v_cmpx_o_f32_e32 v45, v45
	s_cbranch_execz .LBB10_35
; %bb.34:
	v_mul_f32_e32 v27, 0xbfb8aa3b, v45
	v_cmp_nlt_f32_e32 vcc_lo, 0x42ce8ed0, v45
	s_delay_alu instid0(VALU_DEP_2) | instskip(SKIP_1) | instid1(VALU_DEP_2)
	v_rndne_f32_e32 v46, v27
	v_fma_f32 v47, 0xbfb8aa3b, v45, -v27
	v_sub_f32_e32 v27, v27, v46
	s_delay_alu instid0(VALU_DEP_2) | instskip(SKIP_1) | instid1(VALU_DEP_2)
	v_fmamk_f32 v47, v45, 0xb2a5705f, v47
	v_cvt_i32_f32_e32 v46, v46
	v_add_f32_e32 v27, v27, v47
	s_delay_alu instid0(VALU_DEP_1) | instskip(SKIP_2) | instid1(VALU_DEP_1)
	v_exp_f32_e32 v27, v27
	s_waitcnt_depctr 0xfff
	v_ldexp_f32 v27, v27, v46
	v_cndmask_b32_e32 v27, 0, v27, vcc_lo
	v_cmp_ngt_f32_e32 vcc_lo, 0xc2b17218, v45
	s_delay_alu instid0(VALU_DEP_2) | instskip(NEXT) | instid1(VALU_DEP_1)
	v_cndmask_b32_e32 v27, 0x7f800000, v27, vcc_lo
	v_add_f32_e32 v27, 1.0, v27
	s_delay_alu instid0(VALU_DEP_1) | instskip(NEXT) | instid1(VALU_DEP_1)
	v_div_scale_f32 v45, null, v27, v27, 1.0
	v_rcp_f32_e32 v46, v45
	s_waitcnt_depctr 0xfff
	v_fma_f32 v47, -v45, v46, 1.0
	s_delay_alu instid0(VALU_DEP_1) | instskip(SKIP_1) | instid1(VALU_DEP_1)
	v_fmac_f32_e32 v46, v47, v46
	v_div_scale_f32 v47, vcc_lo, 1.0, v27, 1.0
	v_mul_f32_e32 v48, v47, v46
	s_delay_alu instid0(VALU_DEP_1) | instskip(NEXT) | instid1(VALU_DEP_1)
	v_fma_f32 v49, -v45, v48, v47
	v_fmac_f32_e32 v48, v49, v46
	s_delay_alu instid0(VALU_DEP_1) | instskip(NEXT) | instid1(VALU_DEP_1)
	v_fma_f32 v45, -v45, v48, v47
	v_div_fmas_f32 v45, v45, v46, v48
	s_delay_alu instid0(VALU_DEP_1)
	v_div_fixup_f32 v27, v45, v27, 1.0
.LBB10_35:
	s_or_b32 exec_lo, exec_lo, s2
	v_dual_mov_b32 v45, 0 :: v_dual_and_b32 v46, 0xffff0000, v20
	v_mov_b32_e32 v20, 0
	s_mov_b32 s2, exec_lo
	s_delay_alu instid0(VALU_DEP_2)
	v_cmpx_o_f32_e32 v46, v46
	s_cbranch_execz .LBB10_37
; %bb.36:
	v_mul_f32_e32 v45, 0xbfb8aa3b, v46
	v_cmp_nlt_f32_e32 vcc_lo, 0x42ce8ed0, v46
	s_delay_alu instid0(VALU_DEP_2) | instskip(SKIP_1) | instid1(VALU_DEP_1)
	v_rndne_f32_e32 v47, v45
	v_fma_f32 v48, 0xbfb8aa3b, v46, -v45
	v_dual_sub_f32 v45, v45, v47 :: v_dual_fmamk_f32 v48, v46, 0xb2a5705f, v48
	v_cvt_i32_f32_e32 v47, v47
	s_delay_alu instid0(VALU_DEP_2) | instskip(NEXT) | instid1(VALU_DEP_1)
	v_add_f32_e32 v45, v45, v48
	v_exp_f32_e32 v45, v45
	s_waitcnt_depctr 0xfff
	v_ldexp_f32 v45, v45, v47
	s_delay_alu instid0(VALU_DEP_1) | instskip(SKIP_1) | instid1(VALU_DEP_2)
	v_cndmask_b32_e32 v45, 0, v45, vcc_lo
	v_cmp_ngt_f32_e32 vcc_lo, 0xc2b17218, v46
	v_cndmask_b32_e32 v45, 0x7f800000, v45, vcc_lo
	s_delay_alu instid0(VALU_DEP_1) | instskip(NEXT) | instid1(VALU_DEP_1)
	v_add_f32_e32 v45, 1.0, v45
	v_div_scale_f32 v46, null, v45, v45, 1.0
	s_delay_alu instid0(VALU_DEP_1) | instskip(SKIP_2) | instid1(VALU_DEP_1)
	v_rcp_f32_e32 v47, v46
	s_waitcnt_depctr 0xfff
	v_fma_f32 v48, -v46, v47, 1.0
	v_fmac_f32_e32 v47, v48, v47
	v_div_scale_f32 v48, vcc_lo, 1.0, v45, 1.0
	s_delay_alu instid0(VALU_DEP_1) | instskip(NEXT) | instid1(VALU_DEP_1)
	v_mul_f32_e32 v49, v48, v47
	v_fma_f32 v50, -v46, v49, v48
	s_delay_alu instid0(VALU_DEP_1) | instskip(NEXT) | instid1(VALU_DEP_1)
	v_fmac_f32_e32 v49, v50, v47
	v_fma_f32 v46, -v46, v49, v48
	s_delay_alu instid0(VALU_DEP_1) | instskip(NEXT) | instid1(VALU_DEP_1)
	v_div_fmas_f32 v46, v46, v47, v49
	v_div_fixup_f32 v45, v46, v45, 1.0
.LBB10_37:
	s_or_b32 exec_lo, exec_lo, s2
	v_lshlrev_b32_e32 v46, 16, v21
	s_mov_b32 s2, exec_lo
	s_delay_alu instid0(VALU_DEP_1)
	v_cmpx_o_f32_e32 v46, v46
	s_cbranch_execz .LBB10_39
; %bb.38:
	v_mul_f32_e32 v20, 0xbfb8aa3b, v46
	v_cmp_nlt_f32_e32 vcc_lo, 0x42ce8ed0, v46
	s_delay_alu instid0(VALU_DEP_2) | instskip(SKIP_1) | instid1(VALU_DEP_2)
	v_rndne_f32_e32 v47, v20
	v_fma_f32 v48, 0xbfb8aa3b, v46, -v20
	v_sub_f32_e32 v20, v20, v47
	s_delay_alu instid0(VALU_DEP_2) | instskip(SKIP_1) | instid1(VALU_DEP_2)
	v_fmamk_f32 v48, v46, 0xb2a5705f, v48
	v_cvt_i32_f32_e32 v47, v47
	v_add_f32_e32 v20, v20, v48
	s_delay_alu instid0(VALU_DEP_1) | instskip(SKIP_2) | instid1(VALU_DEP_1)
	v_exp_f32_e32 v20, v20
	s_waitcnt_depctr 0xfff
	v_ldexp_f32 v20, v20, v47
	v_cndmask_b32_e32 v20, 0, v20, vcc_lo
	v_cmp_ngt_f32_e32 vcc_lo, 0xc2b17218, v46
	s_delay_alu instid0(VALU_DEP_2) | instskip(NEXT) | instid1(VALU_DEP_1)
	v_cndmask_b32_e32 v20, 0x7f800000, v20, vcc_lo
	v_add_f32_e32 v20, 1.0, v20
	s_delay_alu instid0(VALU_DEP_1) | instskip(NEXT) | instid1(VALU_DEP_1)
	v_div_scale_f32 v46, null, v20, v20, 1.0
	v_rcp_f32_e32 v47, v46
	s_waitcnt_depctr 0xfff
	v_fma_f32 v48, -v46, v47, 1.0
	s_delay_alu instid0(VALU_DEP_1) | instskip(SKIP_1) | instid1(VALU_DEP_1)
	v_fmac_f32_e32 v47, v48, v47
	v_div_scale_f32 v48, vcc_lo, 1.0, v20, 1.0
	v_mul_f32_e32 v49, v48, v47
	s_delay_alu instid0(VALU_DEP_1) | instskip(NEXT) | instid1(VALU_DEP_1)
	v_fma_f32 v50, -v46, v49, v48
	v_fmac_f32_e32 v49, v50, v47
	s_delay_alu instid0(VALU_DEP_1) | instskip(NEXT) | instid1(VALU_DEP_1)
	v_fma_f32 v46, -v46, v49, v48
	v_div_fmas_f32 v46, v46, v47, v49
	s_delay_alu instid0(VALU_DEP_1)
	v_div_fixup_f32 v20, v46, v20, 1.0
.LBB10_39:
	s_or_b32 exec_lo, exec_lo, s2
	v_dual_mov_b32 v46, 0 :: v_dual_and_b32 v47, 0xffff0000, v21
	v_mov_b32_e32 v21, 0
	s_mov_b32 s2, exec_lo
	s_delay_alu instid0(VALU_DEP_2)
	v_cmpx_o_f32_e32 v47, v47
	s_cbranch_execz .LBB10_41
; %bb.40:
	v_mul_f32_e32 v46, 0xbfb8aa3b, v47
	v_cmp_nlt_f32_e32 vcc_lo, 0x42ce8ed0, v47
	s_delay_alu instid0(VALU_DEP_2) | instskip(SKIP_1) | instid1(VALU_DEP_1)
	v_rndne_f32_e32 v48, v46
	v_fma_f32 v49, 0xbfb8aa3b, v47, -v46
	v_dual_sub_f32 v46, v46, v48 :: v_dual_fmamk_f32 v49, v47, 0xb2a5705f, v49
	v_cvt_i32_f32_e32 v48, v48
	s_delay_alu instid0(VALU_DEP_2) | instskip(NEXT) | instid1(VALU_DEP_1)
	v_add_f32_e32 v46, v46, v49
	v_exp_f32_e32 v46, v46
	s_waitcnt_depctr 0xfff
	v_ldexp_f32 v46, v46, v48
	s_delay_alu instid0(VALU_DEP_1) | instskip(SKIP_1) | instid1(VALU_DEP_2)
	v_cndmask_b32_e32 v46, 0, v46, vcc_lo
	v_cmp_ngt_f32_e32 vcc_lo, 0xc2b17218, v47
	v_cndmask_b32_e32 v46, 0x7f800000, v46, vcc_lo
	s_delay_alu instid0(VALU_DEP_1) | instskip(NEXT) | instid1(VALU_DEP_1)
	v_add_f32_e32 v46, 1.0, v46
	v_div_scale_f32 v47, null, v46, v46, 1.0
	s_delay_alu instid0(VALU_DEP_1) | instskip(SKIP_2) | instid1(VALU_DEP_1)
	v_rcp_f32_e32 v48, v47
	s_waitcnt_depctr 0xfff
	v_fma_f32 v49, -v47, v48, 1.0
	v_fmac_f32_e32 v48, v49, v48
	v_div_scale_f32 v49, vcc_lo, 1.0, v46, 1.0
	s_delay_alu instid0(VALU_DEP_1) | instskip(NEXT) | instid1(VALU_DEP_1)
	v_mul_f32_e32 v50, v49, v48
	v_fma_f32 v51, -v47, v50, v49
	s_delay_alu instid0(VALU_DEP_1) | instskip(NEXT) | instid1(VALU_DEP_1)
	v_fmac_f32_e32 v50, v51, v48
	v_fma_f32 v47, -v47, v50, v49
	s_delay_alu instid0(VALU_DEP_1) | instskip(NEXT) | instid1(VALU_DEP_1)
	v_div_fmas_f32 v47, v47, v48, v50
	v_div_fixup_f32 v46, v47, v46, 1.0
.LBB10_41:
	s_or_b32 exec_lo, exec_lo, s2
	v_lshlrev_b32_e32 v47, 16, v22
	s_mov_b32 s2, exec_lo
	s_delay_alu instid0(VALU_DEP_1)
	v_cmpx_o_f32_e32 v47, v47
	s_cbranch_execz .LBB10_43
; %bb.42:
	v_mul_f32_e32 v21, 0xbfb8aa3b, v47
	v_cmp_nlt_f32_e32 vcc_lo, 0x42ce8ed0, v47
	s_delay_alu instid0(VALU_DEP_2) | instskip(SKIP_1) | instid1(VALU_DEP_2)
	v_rndne_f32_e32 v48, v21
	v_fma_f32 v49, 0xbfb8aa3b, v47, -v21
	v_sub_f32_e32 v21, v21, v48
	s_delay_alu instid0(VALU_DEP_2) | instskip(SKIP_1) | instid1(VALU_DEP_2)
	v_fmamk_f32 v49, v47, 0xb2a5705f, v49
	v_cvt_i32_f32_e32 v48, v48
	v_add_f32_e32 v21, v21, v49
	s_delay_alu instid0(VALU_DEP_1) | instskip(SKIP_2) | instid1(VALU_DEP_1)
	v_exp_f32_e32 v21, v21
	s_waitcnt_depctr 0xfff
	v_ldexp_f32 v21, v21, v48
	v_cndmask_b32_e32 v21, 0, v21, vcc_lo
	v_cmp_ngt_f32_e32 vcc_lo, 0xc2b17218, v47
	s_delay_alu instid0(VALU_DEP_2) | instskip(NEXT) | instid1(VALU_DEP_1)
	v_cndmask_b32_e32 v21, 0x7f800000, v21, vcc_lo
	v_add_f32_e32 v21, 1.0, v21
	s_delay_alu instid0(VALU_DEP_1) | instskip(NEXT) | instid1(VALU_DEP_1)
	v_div_scale_f32 v47, null, v21, v21, 1.0
	v_rcp_f32_e32 v48, v47
	s_waitcnt_depctr 0xfff
	v_fma_f32 v49, -v47, v48, 1.0
	s_delay_alu instid0(VALU_DEP_1) | instskip(SKIP_1) | instid1(VALU_DEP_1)
	v_fmac_f32_e32 v48, v49, v48
	v_div_scale_f32 v49, vcc_lo, 1.0, v21, 1.0
	v_mul_f32_e32 v50, v49, v48
	s_delay_alu instid0(VALU_DEP_1) | instskip(NEXT) | instid1(VALU_DEP_1)
	v_fma_f32 v51, -v47, v50, v49
	v_fmac_f32_e32 v50, v51, v48
	s_delay_alu instid0(VALU_DEP_1) | instskip(NEXT) | instid1(VALU_DEP_1)
	v_fma_f32 v47, -v47, v50, v49
	v_div_fmas_f32 v47, v47, v48, v50
	s_delay_alu instid0(VALU_DEP_1)
	v_div_fixup_f32 v21, v47, v21, 1.0
.LBB10_43:
	s_or_b32 exec_lo, exec_lo, s2
	v_dual_mov_b32 v47, 0 :: v_dual_and_b32 v48, 0xffff0000, v22
	v_mov_b32_e32 v22, 0
	s_mov_b32 s2, exec_lo
	s_delay_alu instid0(VALU_DEP_2)
	v_cmpx_o_f32_e32 v48, v48
	s_cbranch_execz .LBB10_45
; %bb.44:
	v_mul_f32_e32 v47, 0xbfb8aa3b, v48
	v_cmp_nlt_f32_e32 vcc_lo, 0x42ce8ed0, v48
	s_delay_alu instid0(VALU_DEP_2) | instskip(SKIP_1) | instid1(VALU_DEP_1)
	v_rndne_f32_e32 v49, v47
	v_fma_f32 v50, 0xbfb8aa3b, v48, -v47
	v_dual_sub_f32 v47, v47, v49 :: v_dual_fmamk_f32 v50, v48, 0xb2a5705f, v50
	v_cvt_i32_f32_e32 v49, v49
	s_delay_alu instid0(VALU_DEP_2) | instskip(NEXT) | instid1(VALU_DEP_1)
	v_add_f32_e32 v47, v47, v50
	v_exp_f32_e32 v47, v47
	s_waitcnt_depctr 0xfff
	v_ldexp_f32 v47, v47, v49
	s_delay_alu instid0(VALU_DEP_1) | instskip(SKIP_1) | instid1(VALU_DEP_2)
	v_cndmask_b32_e32 v47, 0, v47, vcc_lo
	v_cmp_ngt_f32_e32 vcc_lo, 0xc2b17218, v48
	v_cndmask_b32_e32 v47, 0x7f800000, v47, vcc_lo
	s_delay_alu instid0(VALU_DEP_1) | instskip(NEXT) | instid1(VALU_DEP_1)
	v_add_f32_e32 v47, 1.0, v47
	v_div_scale_f32 v48, null, v47, v47, 1.0
	s_delay_alu instid0(VALU_DEP_1) | instskip(SKIP_2) | instid1(VALU_DEP_1)
	v_rcp_f32_e32 v49, v48
	s_waitcnt_depctr 0xfff
	v_fma_f32 v50, -v48, v49, 1.0
	v_fmac_f32_e32 v49, v50, v49
	v_div_scale_f32 v50, vcc_lo, 1.0, v47, 1.0
	s_delay_alu instid0(VALU_DEP_1) | instskip(NEXT) | instid1(VALU_DEP_1)
	v_mul_f32_e32 v51, v50, v49
	v_fma_f32 v52, -v48, v51, v50
	s_delay_alu instid0(VALU_DEP_1) | instskip(NEXT) | instid1(VALU_DEP_1)
	v_fmac_f32_e32 v51, v52, v49
	v_fma_f32 v48, -v48, v51, v50
	s_delay_alu instid0(VALU_DEP_1) | instskip(NEXT) | instid1(VALU_DEP_1)
	v_div_fmas_f32 v48, v48, v49, v51
	v_div_fixup_f32 v47, v48, v47, 1.0
.LBB10_45:
	s_or_b32 exec_lo, exec_lo, s2
	v_lshlrev_b32_e32 v48, 16, v23
	s_mov_b32 s2, exec_lo
	s_delay_alu instid0(VALU_DEP_1)
	v_cmpx_o_f32_e32 v48, v48
	s_cbranch_execz .LBB10_47
; %bb.46:
	v_mul_f32_e32 v22, 0xbfb8aa3b, v48
	v_cmp_nlt_f32_e32 vcc_lo, 0x42ce8ed0, v48
	s_delay_alu instid0(VALU_DEP_2) | instskip(SKIP_1) | instid1(VALU_DEP_2)
	v_rndne_f32_e32 v49, v22
	v_fma_f32 v50, 0xbfb8aa3b, v48, -v22
	v_sub_f32_e32 v22, v22, v49
	s_delay_alu instid0(VALU_DEP_2) | instskip(SKIP_1) | instid1(VALU_DEP_2)
	v_fmamk_f32 v50, v48, 0xb2a5705f, v50
	v_cvt_i32_f32_e32 v49, v49
	v_add_f32_e32 v22, v22, v50
	s_delay_alu instid0(VALU_DEP_1) | instskip(SKIP_2) | instid1(VALU_DEP_1)
	v_exp_f32_e32 v22, v22
	s_waitcnt_depctr 0xfff
	v_ldexp_f32 v22, v22, v49
	v_cndmask_b32_e32 v22, 0, v22, vcc_lo
	v_cmp_ngt_f32_e32 vcc_lo, 0xc2b17218, v48
	s_delay_alu instid0(VALU_DEP_2) | instskip(NEXT) | instid1(VALU_DEP_1)
	v_cndmask_b32_e32 v22, 0x7f800000, v22, vcc_lo
	v_add_f32_e32 v22, 1.0, v22
	s_delay_alu instid0(VALU_DEP_1) | instskip(NEXT) | instid1(VALU_DEP_1)
	v_div_scale_f32 v48, null, v22, v22, 1.0
	v_rcp_f32_e32 v49, v48
	s_waitcnt_depctr 0xfff
	v_fma_f32 v50, -v48, v49, 1.0
	s_delay_alu instid0(VALU_DEP_1) | instskip(SKIP_1) | instid1(VALU_DEP_1)
	v_fmac_f32_e32 v49, v50, v49
	v_div_scale_f32 v50, vcc_lo, 1.0, v22, 1.0
	v_mul_f32_e32 v51, v50, v49
	s_delay_alu instid0(VALU_DEP_1) | instskip(NEXT) | instid1(VALU_DEP_1)
	v_fma_f32 v52, -v48, v51, v50
	v_fmac_f32_e32 v51, v52, v49
	s_delay_alu instid0(VALU_DEP_1) | instskip(NEXT) | instid1(VALU_DEP_1)
	v_fma_f32 v48, -v48, v51, v50
	v_div_fmas_f32 v48, v48, v49, v51
	s_delay_alu instid0(VALU_DEP_1)
	v_div_fixup_f32 v22, v48, v22, 1.0
.LBB10_47:
	s_or_b32 exec_lo, exec_lo, s2
	v_dual_mov_b32 v48, 0 :: v_dual_and_b32 v49, 0xffff0000, v23
	v_mov_b32_e32 v23, 0
	s_mov_b32 s2, exec_lo
	s_delay_alu instid0(VALU_DEP_2)
	v_cmpx_o_f32_e32 v49, v49
	s_cbranch_execz .LBB10_49
; %bb.48:
	v_mul_f32_e32 v48, 0xbfb8aa3b, v49
	v_cmp_nlt_f32_e32 vcc_lo, 0x42ce8ed0, v49
	s_delay_alu instid0(VALU_DEP_2) | instskip(SKIP_1) | instid1(VALU_DEP_1)
	v_rndne_f32_e32 v50, v48
	v_fma_f32 v51, 0xbfb8aa3b, v49, -v48
	v_dual_sub_f32 v48, v48, v50 :: v_dual_fmamk_f32 v51, v49, 0xb2a5705f, v51
	v_cvt_i32_f32_e32 v50, v50
	s_delay_alu instid0(VALU_DEP_2) | instskip(NEXT) | instid1(VALU_DEP_1)
	v_add_f32_e32 v48, v48, v51
	v_exp_f32_e32 v48, v48
	s_waitcnt_depctr 0xfff
	v_ldexp_f32 v48, v48, v50
	s_delay_alu instid0(VALU_DEP_1) | instskip(SKIP_1) | instid1(VALU_DEP_2)
	v_cndmask_b32_e32 v48, 0, v48, vcc_lo
	v_cmp_ngt_f32_e32 vcc_lo, 0xc2b17218, v49
	v_cndmask_b32_e32 v48, 0x7f800000, v48, vcc_lo
	s_delay_alu instid0(VALU_DEP_1) | instskip(NEXT) | instid1(VALU_DEP_1)
	v_add_f32_e32 v48, 1.0, v48
	v_div_scale_f32 v49, null, v48, v48, 1.0
	s_delay_alu instid0(VALU_DEP_1) | instskip(SKIP_2) | instid1(VALU_DEP_1)
	v_rcp_f32_e32 v50, v49
	s_waitcnt_depctr 0xfff
	v_fma_f32 v51, -v49, v50, 1.0
	v_fmac_f32_e32 v50, v51, v50
	v_div_scale_f32 v51, vcc_lo, 1.0, v48, 1.0
	s_delay_alu instid0(VALU_DEP_1) | instskip(NEXT) | instid1(VALU_DEP_1)
	v_mul_f32_e32 v52, v51, v50
	v_fma_f32 v53, -v49, v52, v51
	s_delay_alu instid0(VALU_DEP_1) | instskip(NEXT) | instid1(VALU_DEP_1)
	v_fmac_f32_e32 v52, v53, v50
	v_fma_f32 v49, -v49, v52, v51
	s_delay_alu instid0(VALU_DEP_1) | instskip(NEXT) | instid1(VALU_DEP_1)
	v_div_fmas_f32 v49, v49, v50, v52
	v_div_fixup_f32 v48, v49, v48, 1.0
.LBB10_49:
	s_or_b32 exec_lo, exec_lo, s2
	v_lshlrev_b32_e32 v49, 16, v16
	s_mov_b32 s2, exec_lo
	s_delay_alu instid0(VALU_DEP_1)
	v_cmpx_o_f32_e32 v49, v49
	s_cbranch_execz .LBB10_51
; %bb.50:
	v_mul_f32_e32 v23, 0xbfb8aa3b, v49
	v_cmp_nlt_f32_e32 vcc_lo, 0x42ce8ed0, v49
	s_delay_alu instid0(VALU_DEP_2) | instskip(SKIP_1) | instid1(VALU_DEP_2)
	v_rndne_f32_e32 v50, v23
	v_fma_f32 v51, 0xbfb8aa3b, v49, -v23
	v_sub_f32_e32 v23, v23, v50
	s_delay_alu instid0(VALU_DEP_2) | instskip(SKIP_1) | instid1(VALU_DEP_2)
	v_fmamk_f32 v51, v49, 0xb2a5705f, v51
	v_cvt_i32_f32_e32 v50, v50
	v_add_f32_e32 v23, v23, v51
	s_delay_alu instid0(VALU_DEP_1) | instskip(SKIP_2) | instid1(VALU_DEP_1)
	v_exp_f32_e32 v23, v23
	s_waitcnt_depctr 0xfff
	v_ldexp_f32 v23, v23, v50
	v_cndmask_b32_e32 v23, 0, v23, vcc_lo
	v_cmp_ngt_f32_e32 vcc_lo, 0xc2b17218, v49
	s_delay_alu instid0(VALU_DEP_2) | instskip(NEXT) | instid1(VALU_DEP_1)
	v_cndmask_b32_e32 v23, 0x7f800000, v23, vcc_lo
	v_add_f32_e32 v23, 1.0, v23
	s_delay_alu instid0(VALU_DEP_1) | instskip(NEXT) | instid1(VALU_DEP_1)
	v_div_scale_f32 v49, null, v23, v23, 1.0
	v_rcp_f32_e32 v50, v49
	s_waitcnt_depctr 0xfff
	v_fma_f32 v51, -v49, v50, 1.0
	s_delay_alu instid0(VALU_DEP_1) | instskip(SKIP_1) | instid1(VALU_DEP_1)
	v_fmac_f32_e32 v50, v51, v50
	v_div_scale_f32 v51, vcc_lo, 1.0, v23, 1.0
	v_mul_f32_e32 v52, v51, v50
	s_delay_alu instid0(VALU_DEP_1) | instskip(NEXT) | instid1(VALU_DEP_1)
	v_fma_f32 v53, -v49, v52, v51
	v_fmac_f32_e32 v52, v53, v50
	s_delay_alu instid0(VALU_DEP_1) | instskip(NEXT) | instid1(VALU_DEP_1)
	v_fma_f32 v49, -v49, v52, v51
	v_div_fmas_f32 v49, v49, v50, v52
	s_delay_alu instid0(VALU_DEP_1)
	v_div_fixup_f32 v23, v49, v23, 1.0
.LBB10_51:
	s_or_b32 exec_lo, exec_lo, s2
	v_dual_mov_b32 v49, 0 :: v_dual_and_b32 v50, 0xffff0000, v16
	v_mov_b32_e32 v16, 0
	s_mov_b32 s2, exec_lo
	s_delay_alu instid0(VALU_DEP_2)
	v_cmpx_o_f32_e32 v50, v50
	s_cbranch_execz .LBB10_53
; %bb.52:
	v_mul_f32_e32 v49, 0xbfb8aa3b, v50
	v_cmp_nlt_f32_e32 vcc_lo, 0x42ce8ed0, v50
	s_delay_alu instid0(VALU_DEP_2) | instskip(SKIP_1) | instid1(VALU_DEP_1)
	v_rndne_f32_e32 v51, v49
	v_fma_f32 v52, 0xbfb8aa3b, v50, -v49
	v_dual_sub_f32 v49, v49, v51 :: v_dual_fmamk_f32 v52, v50, 0xb2a5705f, v52
	v_cvt_i32_f32_e32 v51, v51
	s_delay_alu instid0(VALU_DEP_2) | instskip(NEXT) | instid1(VALU_DEP_1)
	v_add_f32_e32 v49, v49, v52
	v_exp_f32_e32 v49, v49
	s_waitcnt_depctr 0xfff
	v_ldexp_f32 v49, v49, v51
	s_delay_alu instid0(VALU_DEP_1) | instskip(SKIP_1) | instid1(VALU_DEP_2)
	v_cndmask_b32_e32 v49, 0, v49, vcc_lo
	v_cmp_ngt_f32_e32 vcc_lo, 0xc2b17218, v50
	v_cndmask_b32_e32 v49, 0x7f800000, v49, vcc_lo
	s_delay_alu instid0(VALU_DEP_1) | instskip(NEXT) | instid1(VALU_DEP_1)
	v_add_f32_e32 v49, 1.0, v49
	v_div_scale_f32 v50, null, v49, v49, 1.0
	s_delay_alu instid0(VALU_DEP_1) | instskip(SKIP_2) | instid1(VALU_DEP_1)
	v_rcp_f32_e32 v51, v50
	s_waitcnt_depctr 0xfff
	v_fma_f32 v52, -v50, v51, 1.0
	v_fmac_f32_e32 v51, v52, v51
	v_div_scale_f32 v52, vcc_lo, 1.0, v49, 1.0
	s_delay_alu instid0(VALU_DEP_1) | instskip(NEXT) | instid1(VALU_DEP_1)
	v_mul_f32_e32 v53, v52, v51
	v_fma_f32 v54, -v50, v53, v52
	s_delay_alu instid0(VALU_DEP_1) | instskip(NEXT) | instid1(VALU_DEP_1)
	v_fmac_f32_e32 v53, v54, v51
	v_fma_f32 v50, -v50, v53, v52
	s_delay_alu instid0(VALU_DEP_1) | instskip(NEXT) | instid1(VALU_DEP_1)
	v_div_fmas_f32 v50, v50, v51, v53
	v_div_fixup_f32 v49, v50, v49, 1.0
.LBB10_53:
	s_or_b32 exec_lo, exec_lo, s2
	v_lshlrev_b32_e32 v50, 16, v17
	s_mov_b32 s2, exec_lo
	s_delay_alu instid0(VALU_DEP_1)
	v_cmpx_o_f32_e32 v50, v50
	s_cbranch_execz .LBB10_55
; %bb.54:
	v_mul_f32_e32 v16, 0xbfb8aa3b, v50
	v_cmp_nlt_f32_e32 vcc_lo, 0x42ce8ed0, v50
	s_delay_alu instid0(VALU_DEP_2) | instskip(SKIP_1) | instid1(VALU_DEP_2)
	v_rndne_f32_e32 v51, v16
	v_fma_f32 v52, 0xbfb8aa3b, v50, -v16
	v_sub_f32_e32 v16, v16, v51
	s_delay_alu instid0(VALU_DEP_2) | instskip(SKIP_1) | instid1(VALU_DEP_2)
	v_fmamk_f32 v52, v50, 0xb2a5705f, v52
	v_cvt_i32_f32_e32 v51, v51
	v_add_f32_e32 v16, v16, v52
	s_delay_alu instid0(VALU_DEP_1) | instskip(SKIP_2) | instid1(VALU_DEP_1)
	v_exp_f32_e32 v16, v16
	s_waitcnt_depctr 0xfff
	v_ldexp_f32 v16, v16, v51
	v_cndmask_b32_e32 v16, 0, v16, vcc_lo
	v_cmp_ngt_f32_e32 vcc_lo, 0xc2b17218, v50
	s_delay_alu instid0(VALU_DEP_2) | instskip(NEXT) | instid1(VALU_DEP_1)
	v_cndmask_b32_e32 v16, 0x7f800000, v16, vcc_lo
	v_add_f32_e32 v16, 1.0, v16
	s_delay_alu instid0(VALU_DEP_1) | instskip(NEXT) | instid1(VALU_DEP_1)
	v_div_scale_f32 v50, null, v16, v16, 1.0
	v_rcp_f32_e32 v51, v50
	s_waitcnt_depctr 0xfff
	v_fma_f32 v52, -v50, v51, 1.0
	s_delay_alu instid0(VALU_DEP_1) | instskip(SKIP_1) | instid1(VALU_DEP_1)
	v_fmac_f32_e32 v51, v52, v51
	v_div_scale_f32 v52, vcc_lo, 1.0, v16, 1.0
	v_mul_f32_e32 v53, v52, v51
	s_delay_alu instid0(VALU_DEP_1) | instskip(NEXT) | instid1(VALU_DEP_1)
	v_fma_f32 v54, -v50, v53, v52
	v_fmac_f32_e32 v53, v54, v51
	s_delay_alu instid0(VALU_DEP_1) | instskip(NEXT) | instid1(VALU_DEP_1)
	v_fma_f32 v50, -v50, v53, v52
	v_div_fmas_f32 v50, v50, v51, v53
	s_delay_alu instid0(VALU_DEP_1)
	v_div_fixup_f32 v16, v50, v16, 1.0
.LBB10_55:
	s_or_b32 exec_lo, exec_lo, s2
	v_dual_mov_b32 v50, 0 :: v_dual_and_b32 v51, 0xffff0000, v17
	v_mov_b32_e32 v17, 0
	s_mov_b32 s2, exec_lo
	s_delay_alu instid0(VALU_DEP_2)
	v_cmpx_o_f32_e32 v51, v51
	s_cbranch_execz .LBB10_57
; %bb.56:
	v_mul_f32_e32 v50, 0xbfb8aa3b, v51
	v_cmp_nlt_f32_e32 vcc_lo, 0x42ce8ed0, v51
	s_delay_alu instid0(VALU_DEP_2) | instskip(SKIP_1) | instid1(VALU_DEP_1)
	v_rndne_f32_e32 v52, v50
	v_fma_f32 v53, 0xbfb8aa3b, v51, -v50
	v_dual_sub_f32 v50, v50, v52 :: v_dual_fmamk_f32 v53, v51, 0xb2a5705f, v53
	v_cvt_i32_f32_e32 v52, v52
	s_delay_alu instid0(VALU_DEP_2) | instskip(NEXT) | instid1(VALU_DEP_1)
	v_add_f32_e32 v50, v50, v53
	v_exp_f32_e32 v50, v50
	s_waitcnt_depctr 0xfff
	v_ldexp_f32 v50, v50, v52
	s_delay_alu instid0(VALU_DEP_1) | instskip(SKIP_1) | instid1(VALU_DEP_2)
	v_cndmask_b32_e32 v50, 0, v50, vcc_lo
	v_cmp_ngt_f32_e32 vcc_lo, 0xc2b17218, v51
	v_cndmask_b32_e32 v50, 0x7f800000, v50, vcc_lo
	s_delay_alu instid0(VALU_DEP_1) | instskip(NEXT) | instid1(VALU_DEP_1)
	v_add_f32_e32 v50, 1.0, v50
	v_div_scale_f32 v51, null, v50, v50, 1.0
	s_delay_alu instid0(VALU_DEP_1) | instskip(SKIP_2) | instid1(VALU_DEP_1)
	v_rcp_f32_e32 v52, v51
	s_waitcnt_depctr 0xfff
	v_fma_f32 v53, -v51, v52, 1.0
	v_fmac_f32_e32 v52, v53, v52
	v_div_scale_f32 v53, vcc_lo, 1.0, v50, 1.0
	s_delay_alu instid0(VALU_DEP_1) | instskip(NEXT) | instid1(VALU_DEP_1)
	v_mul_f32_e32 v54, v53, v52
	v_fma_f32 v55, -v51, v54, v53
	s_delay_alu instid0(VALU_DEP_1) | instskip(NEXT) | instid1(VALU_DEP_1)
	v_fmac_f32_e32 v54, v55, v52
	v_fma_f32 v51, -v51, v54, v53
	s_delay_alu instid0(VALU_DEP_1) | instskip(NEXT) | instid1(VALU_DEP_1)
	v_div_fmas_f32 v51, v51, v52, v54
	v_div_fixup_f32 v50, v51, v50, 1.0
.LBB10_57:
	s_or_b32 exec_lo, exec_lo, s2
	v_lshlrev_b32_e32 v51, 16, v18
	s_mov_b32 s2, exec_lo
	s_delay_alu instid0(VALU_DEP_1)
	v_cmpx_o_f32_e32 v51, v51
	s_cbranch_execz .LBB10_59
; %bb.58:
	v_mul_f32_e32 v17, 0xbfb8aa3b, v51
	v_cmp_nlt_f32_e32 vcc_lo, 0x42ce8ed0, v51
	s_delay_alu instid0(VALU_DEP_2) | instskip(SKIP_1) | instid1(VALU_DEP_2)
	v_rndne_f32_e32 v52, v17
	v_fma_f32 v53, 0xbfb8aa3b, v51, -v17
	v_sub_f32_e32 v17, v17, v52
	s_delay_alu instid0(VALU_DEP_2) | instskip(SKIP_1) | instid1(VALU_DEP_2)
	v_fmamk_f32 v53, v51, 0xb2a5705f, v53
	v_cvt_i32_f32_e32 v52, v52
	v_add_f32_e32 v17, v17, v53
	s_delay_alu instid0(VALU_DEP_1) | instskip(SKIP_2) | instid1(VALU_DEP_1)
	v_exp_f32_e32 v17, v17
	s_waitcnt_depctr 0xfff
	v_ldexp_f32 v17, v17, v52
	v_cndmask_b32_e32 v17, 0, v17, vcc_lo
	v_cmp_ngt_f32_e32 vcc_lo, 0xc2b17218, v51
	s_delay_alu instid0(VALU_DEP_2) | instskip(NEXT) | instid1(VALU_DEP_1)
	v_cndmask_b32_e32 v17, 0x7f800000, v17, vcc_lo
	v_add_f32_e32 v17, 1.0, v17
	s_delay_alu instid0(VALU_DEP_1) | instskip(NEXT) | instid1(VALU_DEP_1)
	v_div_scale_f32 v51, null, v17, v17, 1.0
	v_rcp_f32_e32 v52, v51
	s_waitcnt_depctr 0xfff
	v_fma_f32 v53, -v51, v52, 1.0
	s_delay_alu instid0(VALU_DEP_1) | instskip(SKIP_1) | instid1(VALU_DEP_1)
	v_fmac_f32_e32 v52, v53, v52
	v_div_scale_f32 v53, vcc_lo, 1.0, v17, 1.0
	v_mul_f32_e32 v54, v53, v52
	s_delay_alu instid0(VALU_DEP_1) | instskip(NEXT) | instid1(VALU_DEP_1)
	v_fma_f32 v55, -v51, v54, v53
	v_fmac_f32_e32 v54, v55, v52
	s_delay_alu instid0(VALU_DEP_1) | instskip(NEXT) | instid1(VALU_DEP_1)
	v_fma_f32 v51, -v51, v54, v53
	v_div_fmas_f32 v51, v51, v52, v54
	s_delay_alu instid0(VALU_DEP_1)
	v_div_fixup_f32 v17, v51, v17, 1.0
.LBB10_59:
	s_or_b32 exec_lo, exec_lo, s2
	v_dual_mov_b32 v51, 0 :: v_dual_and_b32 v52, 0xffff0000, v18
	v_mov_b32_e32 v18, 0
	s_mov_b32 s2, exec_lo
	s_delay_alu instid0(VALU_DEP_2)
	v_cmpx_o_f32_e32 v52, v52
	s_cbranch_execz .LBB10_61
; %bb.60:
	v_mul_f32_e32 v51, 0xbfb8aa3b, v52
	v_cmp_nlt_f32_e32 vcc_lo, 0x42ce8ed0, v52
	s_delay_alu instid0(VALU_DEP_2) | instskip(SKIP_1) | instid1(VALU_DEP_1)
	v_rndne_f32_e32 v53, v51
	v_fma_f32 v54, 0xbfb8aa3b, v52, -v51
	v_dual_sub_f32 v51, v51, v53 :: v_dual_fmamk_f32 v54, v52, 0xb2a5705f, v54
	v_cvt_i32_f32_e32 v53, v53
	s_delay_alu instid0(VALU_DEP_2) | instskip(NEXT) | instid1(VALU_DEP_1)
	v_add_f32_e32 v51, v51, v54
	v_exp_f32_e32 v51, v51
	s_waitcnt_depctr 0xfff
	v_ldexp_f32 v51, v51, v53
	s_delay_alu instid0(VALU_DEP_1) | instskip(SKIP_1) | instid1(VALU_DEP_2)
	v_cndmask_b32_e32 v51, 0, v51, vcc_lo
	v_cmp_ngt_f32_e32 vcc_lo, 0xc2b17218, v52
	v_cndmask_b32_e32 v51, 0x7f800000, v51, vcc_lo
	s_delay_alu instid0(VALU_DEP_1) | instskip(NEXT) | instid1(VALU_DEP_1)
	v_add_f32_e32 v51, 1.0, v51
	v_div_scale_f32 v52, null, v51, v51, 1.0
	s_delay_alu instid0(VALU_DEP_1) | instskip(SKIP_2) | instid1(VALU_DEP_1)
	v_rcp_f32_e32 v53, v52
	s_waitcnt_depctr 0xfff
	v_fma_f32 v54, -v52, v53, 1.0
	v_fmac_f32_e32 v53, v54, v53
	v_div_scale_f32 v54, vcc_lo, 1.0, v51, 1.0
	s_delay_alu instid0(VALU_DEP_1) | instskip(NEXT) | instid1(VALU_DEP_1)
	v_mul_f32_e32 v55, v54, v53
	v_fma_f32 v56, -v52, v55, v54
	s_delay_alu instid0(VALU_DEP_1) | instskip(NEXT) | instid1(VALU_DEP_1)
	v_fmac_f32_e32 v55, v56, v53
	v_fma_f32 v52, -v52, v55, v54
	s_delay_alu instid0(VALU_DEP_1) | instskip(NEXT) | instid1(VALU_DEP_1)
	v_div_fmas_f32 v52, v52, v53, v55
	v_div_fixup_f32 v51, v52, v51, 1.0
.LBB10_61:
	s_or_b32 exec_lo, exec_lo, s2
	v_lshlrev_b32_e32 v52, 16, v19
	s_mov_b32 s2, exec_lo
	s_delay_alu instid0(VALU_DEP_1)
	v_cmpx_o_f32_e32 v52, v52
	s_cbranch_execz .LBB10_63
; %bb.62:
	v_mul_f32_e32 v18, 0xbfb8aa3b, v52
	v_cmp_nlt_f32_e32 vcc_lo, 0x42ce8ed0, v52
	s_delay_alu instid0(VALU_DEP_2) | instskip(SKIP_1) | instid1(VALU_DEP_2)
	v_rndne_f32_e32 v53, v18
	v_fma_f32 v54, 0xbfb8aa3b, v52, -v18
	v_sub_f32_e32 v18, v18, v53
	s_delay_alu instid0(VALU_DEP_2) | instskip(SKIP_1) | instid1(VALU_DEP_2)
	v_fmamk_f32 v54, v52, 0xb2a5705f, v54
	v_cvt_i32_f32_e32 v53, v53
	v_add_f32_e32 v18, v18, v54
	s_delay_alu instid0(VALU_DEP_1) | instskip(SKIP_2) | instid1(VALU_DEP_1)
	v_exp_f32_e32 v18, v18
	s_waitcnt_depctr 0xfff
	v_ldexp_f32 v18, v18, v53
	v_cndmask_b32_e32 v18, 0, v18, vcc_lo
	v_cmp_ngt_f32_e32 vcc_lo, 0xc2b17218, v52
	s_delay_alu instid0(VALU_DEP_2) | instskip(NEXT) | instid1(VALU_DEP_1)
	v_cndmask_b32_e32 v18, 0x7f800000, v18, vcc_lo
	v_add_f32_e32 v18, 1.0, v18
	s_delay_alu instid0(VALU_DEP_1) | instskip(NEXT) | instid1(VALU_DEP_1)
	v_div_scale_f32 v52, null, v18, v18, 1.0
	v_rcp_f32_e32 v53, v52
	s_waitcnt_depctr 0xfff
	v_fma_f32 v54, -v52, v53, 1.0
	s_delay_alu instid0(VALU_DEP_1) | instskip(SKIP_1) | instid1(VALU_DEP_1)
	v_fmac_f32_e32 v53, v54, v53
	v_div_scale_f32 v54, vcc_lo, 1.0, v18, 1.0
	v_mul_f32_e32 v55, v54, v53
	s_delay_alu instid0(VALU_DEP_1) | instskip(NEXT) | instid1(VALU_DEP_1)
	v_fma_f32 v56, -v52, v55, v54
	v_fmac_f32_e32 v55, v56, v53
	s_delay_alu instid0(VALU_DEP_1) | instskip(NEXT) | instid1(VALU_DEP_1)
	v_fma_f32 v52, -v52, v55, v54
	v_div_fmas_f32 v52, v52, v53, v55
	s_delay_alu instid0(VALU_DEP_1)
	v_div_fixup_f32 v18, v52, v18, 1.0
.LBB10_63:
	s_or_b32 exec_lo, exec_lo, s2
	v_dual_mov_b32 v19, 0 :: v_dual_and_b32 v52, 0xffff0000, v19
	s_mov_b32 s2, exec_lo
	s_delay_alu instid0(VALU_DEP_1)
	v_cmpx_o_f32_e32 v52, v52
	s_cbranch_execz .LBB10_65
; %bb.64:
	v_mul_f32_e32 v19, 0xbfb8aa3b, v52
	v_cmp_nlt_f32_e32 vcc_lo, 0x42ce8ed0, v52
	s_delay_alu instid0(VALU_DEP_2) | instskip(SKIP_1) | instid1(VALU_DEP_1)
	v_rndne_f32_e32 v53, v19
	v_fma_f32 v54, 0xbfb8aa3b, v52, -v19
	v_dual_sub_f32 v19, v19, v53 :: v_dual_fmamk_f32 v54, v52, 0xb2a5705f, v54
	v_cvt_i32_f32_e32 v53, v53
	s_delay_alu instid0(VALU_DEP_2) | instskip(NEXT) | instid1(VALU_DEP_1)
	v_add_f32_e32 v19, v19, v54
	v_exp_f32_e32 v19, v19
	s_waitcnt_depctr 0xfff
	v_ldexp_f32 v19, v19, v53
	s_delay_alu instid0(VALU_DEP_1) | instskip(SKIP_1) | instid1(VALU_DEP_2)
	v_cndmask_b32_e32 v19, 0, v19, vcc_lo
	v_cmp_ngt_f32_e32 vcc_lo, 0xc2b17218, v52
	v_cndmask_b32_e32 v19, 0x7f800000, v19, vcc_lo
	s_delay_alu instid0(VALU_DEP_1) | instskip(NEXT) | instid1(VALU_DEP_1)
	v_add_f32_e32 v19, 1.0, v19
	v_div_scale_f32 v52, null, v19, v19, 1.0
	s_delay_alu instid0(VALU_DEP_1) | instskip(SKIP_2) | instid1(VALU_DEP_1)
	v_rcp_f32_e32 v53, v52
	s_waitcnt_depctr 0xfff
	v_fma_f32 v54, -v52, v53, 1.0
	v_fmac_f32_e32 v53, v54, v53
	v_div_scale_f32 v54, vcc_lo, 1.0, v19, 1.0
	s_delay_alu instid0(VALU_DEP_1) | instskip(NEXT) | instid1(VALU_DEP_1)
	v_mul_f32_e32 v55, v54, v53
	v_fma_f32 v56, -v52, v55, v54
	s_delay_alu instid0(VALU_DEP_1) | instskip(NEXT) | instid1(VALU_DEP_1)
	v_fmac_f32_e32 v55, v56, v53
	v_fma_f32 v52, -v52, v55, v54
	s_delay_alu instid0(VALU_DEP_1) | instskip(NEXT) | instid1(VALU_DEP_1)
	v_div_fmas_f32 v52, v52, v53, v55
	v_div_fixup_f32 v19, v52, v19, 1.0
.LBB10_65:
	s_or_b32 exec_lo, exec_lo, s2
	s_waitcnt vmcnt(0)
	v_lshlrev_b32_e32 v52, 16, v12
	v_and_b32_e32 v53, 0xffff0000, v12
	s_mov_b32 s2, exec_lo
	s_delay_alu instid0(VALU_DEP_2) | instskip(NEXT) | instid1(VALU_DEP_1)
	v_add_f32_e32 v12, v35, v52
	v_dual_add_f32 v52, v36, v53 :: v_dual_max_f32 v53, 0xff7fffff, v12
	s_delay_alu instid0(VALU_DEP_1) | instskip(NEXT) | instid1(VALU_DEP_2)
	v_mov_b32_e32 v56, v52
	v_mov_b32_e32 v54, v53
	v_cmpx_ngt_f32_e32 v52, v53
	s_cbranch_execz .LBB10_69
; %bb.66:
	v_mov_b32_e32 v54, 0xff7fffff
	s_mov_b32 s3, exec_lo
	v_cmpx_lt_f32_e32 0xff7fffff, v52
; %bb.67:
	v_mov_b32_e32 v54, v52
; %bb.68:
	s_or_b32 exec_lo, exec_lo, s3
	v_mov_b32_e32 v56, v53
.LBB10_69:
	s_or_b32 exec_lo, exec_lo, s2
	v_lshlrev_b32_e32 v53, 16, v13
	s_delay_alu instid0(VALU_DEP_2) | instskip(SKIP_1) | instid1(VALU_DEP_2)
	v_mov_b32_e32 v55, v56
	s_mov_b32 s2, exec_lo
	v_add_f32_e32 v53, v28, v53
	s_delay_alu instid0(VALU_DEP_1)
	v_mov_b32_e32 v57, v53
	v_cmpx_ngt_f32_e32 v53, v56
	s_cbranch_execz .LBB10_73
; %bb.70:
	s_mov_b32 s3, exec_lo
	v_cmpx_gt_f32_e32 v53, v54
; %bb.71:
	v_mov_b32_e32 v54, v53
; %bb.72:
	s_or_b32 exec_lo, exec_lo, s3
	s_delay_alu instid0(VALU_DEP_1)
	v_mov_b32_e32 v55, v54
	v_mov_b32_e32 v57, v56
.LBB10_73:
	s_or_b32 exec_lo, exec_lo, s2
	s_delay_alu instid0(VALU_DEP_1) | instskip(SKIP_1) | instid1(VALU_DEP_1)
	v_dual_mov_b32 v56, v57 :: v_dual_and_b32 v13, 0xffff0000, v13
	s_mov_b32 s2, exec_lo
	v_add_f32_e32 v13, v37, v13
	s_delay_alu instid0(VALU_DEP_1)
	v_mov_b32_e32 v58, v13
	v_cmpx_ngt_f32_e32 v13, v57
	s_cbranch_execz .LBB10_77
; %bb.74:
	s_mov_b32 s3, exec_lo
	v_cmpx_gt_f32_e32 v13, v55
; %bb.75:
	v_mov_b32_e32 v55, v13
; %bb.76:
	s_or_b32 exec_lo, exec_lo, s3
	s_delay_alu instid0(VALU_DEP_1)
	v_mov_b32_e32 v56, v55
	v_mov_b32_e32 v58, v57
.LBB10_77:
	s_or_b32 exec_lo, exec_lo, s2
	s_delay_alu instid0(VALU_DEP_1) | instskip(SKIP_1) | instid1(VALU_DEP_1)
	v_dual_mov_b32 v55, v58 :: v_dual_lshlrev_b32 v54, 16, v14
	s_mov_b32 s2, exec_lo
	v_add_f32_e32 v54, v29, v54
	s_delay_alu instid0(VALU_DEP_1)
	v_mov_b32_e32 v57, v54
	v_cmpx_ngt_f32_e32 v54, v58
	s_cbranch_execz .LBB10_81
; %bb.78:
	s_mov_b32 s3, exec_lo
	v_cmpx_gt_f32_e32 v54, v56
; %bb.79:
	v_mov_b32_e32 v56, v54
; %bb.80:
	s_or_b32 exec_lo, exec_lo, s3
	s_delay_alu instid0(VALU_DEP_1)
	v_mov_b32_e32 v55, v56
	v_mov_b32_e32 v57, v58
.LBB10_81:
	s_or_b32 exec_lo, exec_lo, s2
	v_and_b32_e32 v14, 0xffff0000, v14
	s_delay_alu instid0(VALU_DEP_2) | instskip(SKIP_1) | instid1(VALU_DEP_2)
	v_mov_b32_e32 v56, v57
	s_mov_b32 s2, exec_lo
	v_add_f32_e32 v14, v38, v14
	s_delay_alu instid0(VALU_DEP_1)
	v_mov_b32_e32 v58, v14
	v_cmpx_ngt_f32_e32 v14, v57
	s_cbranch_execz .LBB10_85
; %bb.82:
	s_mov_b32 s3, exec_lo
	v_cmpx_gt_f32_e32 v14, v55
; %bb.83:
	v_mov_b32_e32 v55, v14
; %bb.84:
	s_or_b32 exec_lo, exec_lo, s3
	s_delay_alu instid0(VALU_DEP_1)
	v_mov_b32_e32 v56, v55
	v_mov_b32_e32 v58, v57
.LBB10_85:
	s_or_b32 exec_lo, exec_lo, s2
	v_lshlrev_b32_e32 v55, 16, v15
	s_delay_alu instid0(VALU_DEP_2) | instskip(SKIP_1) | instid1(VALU_DEP_2)
	v_mov_b32_e32 v57, v58
	s_mov_b32 s2, exec_lo
	v_add_f32_e32 v55, v30, v55
	s_delay_alu instid0(VALU_DEP_1)
	v_mov_b32_e32 v59, v55
	v_cmpx_ngt_f32_e32 v55, v58
	s_cbranch_execz .LBB10_89
; %bb.86:
	s_mov_b32 s3, exec_lo
	v_cmpx_gt_f32_e32 v55, v56
; %bb.87:
	v_mov_b32_e32 v56, v55
; %bb.88:
	s_or_b32 exec_lo, exec_lo, s3
	s_delay_alu instid0(VALU_DEP_1)
	v_mov_b32_e32 v57, v56
	v_mov_b32_e32 v59, v58
.LBB10_89:
	s_or_b32 exec_lo, exec_lo, s2
	s_delay_alu instid0(VALU_DEP_1) | instskip(SKIP_1) | instid1(VALU_DEP_1)
	v_dual_mov_b32 v58, v59 :: v_dual_and_b32 v15, 0xffff0000, v15
	s_mov_b32 s2, exec_lo
	v_add_f32_e32 v15, v39, v15
	s_delay_alu instid0(VALU_DEP_1)
	v_mov_b32_e32 v60, v15
	v_cmpx_ngt_f32_e32 v15, v59
	s_cbranch_execz .LBB10_93
; %bb.90:
	s_mov_b32 s3, exec_lo
	v_cmpx_gt_f32_e32 v15, v57
; %bb.91:
	v_mov_b32_e32 v57, v15
; %bb.92:
	s_or_b32 exec_lo, exec_lo, s3
	s_delay_alu instid0(VALU_DEP_1)
	v_mov_b32_e32 v58, v57
	v_mov_b32_e32 v60, v59
.LBB10_93:
	s_or_b32 exec_lo, exec_lo, s2
	s_delay_alu instid0(VALU_DEP_1) | instskip(SKIP_1) | instid1(VALU_DEP_1)
	v_dual_mov_b32 v57, v60 :: v_dual_lshlrev_b32 v56, 16, v8
	s_mov_b32 s2, exec_lo
	v_add_f32_e32 v56, v31, v56
	s_delay_alu instid0(VALU_DEP_1)
	v_mov_b32_e32 v59, v56
	v_cmpx_ngt_f32_e32 v56, v60
	s_cbranch_execz .LBB10_97
; %bb.94:
	s_mov_b32 s3, exec_lo
	v_cmpx_gt_f32_e32 v56, v58
; %bb.95:
	v_mov_b32_e32 v58, v56
; %bb.96:
	s_or_b32 exec_lo, exec_lo, s3
	s_delay_alu instid0(VALU_DEP_1)
	v_mov_b32_e32 v57, v58
	v_mov_b32_e32 v59, v60
.LBB10_97:
	s_or_b32 exec_lo, exec_lo, s2
	v_and_b32_e32 v8, 0xffff0000, v8
	s_delay_alu instid0(VALU_DEP_2) | instskip(SKIP_1) | instid1(VALU_DEP_2)
	v_mov_b32_e32 v58, v59
	s_mov_b32 s2, exec_lo
	v_add_f32_e32 v8, v40, v8
	s_delay_alu instid0(VALU_DEP_1)
	v_mov_b32_e32 v60, v8
	v_cmpx_ngt_f32_e32 v8, v59
	s_cbranch_execz .LBB10_101
; %bb.98:
	s_mov_b32 s3, exec_lo
	v_cmpx_gt_f32_e32 v8, v57
; %bb.99:
	v_mov_b32_e32 v57, v8
; %bb.100:
	s_or_b32 exec_lo, exec_lo, s3
	s_delay_alu instid0(VALU_DEP_1)
	v_mov_b32_e32 v58, v57
	v_mov_b32_e32 v60, v59
.LBB10_101:
	s_or_b32 exec_lo, exec_lo, s2
	v_lshlrev_b32_e32 v57, 16, v9
	s_delay_alu instid0(VALU_DEP_2) | instskip(SKIP_1) | instid1(VALU_DEP_2)
	v_mov_b32_e32 v59, v60
	s_mov_b32 s2, exec_lo
	v_add_f32_e32 v57, v24, v57
	s_delay_alu instid0(VALU_DEP_1)
	v_mov_b32_e32 v61, v57
	v_cmpx_ngt_f32_e32 v57, v60
	s_cbranch_execz .LBB10_105
; %bb.102:
	s_mov_b32 s3, exec_lo
	v_cmpx_gt_f32_e32 v57, v58
; %bb.103:
	v_mov_b32_e32 v58, v57
; %bb.104:
	s_or_b32 exec_lo, exec_lo, s3
	s_delay_alu instid0(VALU_DEP_1)
	v_mov_b32_e32 v59, v58
	v_mov_b32_e32 v61, v60
.LBB10_105:
	s_or_b32 exec_lo, exec_lo, s2
	s_delay_alu instid0(VALU_DEP_1) | instskip(SKIP_1) | instid1(VALU_DEP_1)
	v_dual_mov_b32 v60, v61 :: v_dual_and_b32 v9, 0xffff0000, v9
	s_mov_b32 s2, exec_lo
	v_add_f32_e32 v9, v42, v9
	s_delay_alu instid0(VALU_DEP_1)
	v_mov_b32_e32 v62, v9
	v_cmpx_ngt_f32_e32 v9, v61
	s_cbranch_execz .LBB10_109
; %bb.106:
	s_mov_b32 s3, exec_lo
	v_cmpx_gt_f32_e32 v9, v59
; %bb.107:
	v_mov_b32_e32 v59, v9
; %bb.108:
	s_or_b32 exec_lo, exec_lo, s3
	s_delay_alu instid0(VALU_DEP_1)
	v_mov_b32_e32 v60, v59
	v_mov_b32_e32 v62, v61
.LBB10_109:
	s_or_b32 exec_lo, exec_lo, s2
	s_delay_alu instid0(VALU_DEP_1) | instskip(SKIP_1) | instid1(VALU_DEP_1)
	v_dual_mov_b32 v59, v62 :: v_dual_lshlrev_b32 v58, 16, v10
	s_mov_b32 s2, exec_lo
	v_add_f32_e32 v58, v25, v58
	s_delay_alu instid0(VALU_DEP_1)
	v_mov_b32_e32 v61, v58
	v_cmpx_ngt_f32_e32 v58, v62
	s_cbranch_execz .LBB10_113
; %bb.110:
	s_mov_b32 s3, exec_lo
	v_cmpx_gt_f32_e32 v58, v60
; %bb.111:
	v_mov_b32_e32 v60, v58
; %bb.112:
	s_or_b32 exec_lo, exec_lo, s3
	s_delay_alu instid0(VALU_DEP_1)
	v_mov_b32_e32 v59, v60
	v_mov_b32_e32 v61, v62
.LBB10_113:
	s_or_b32 exec_lo, exec_lo, s2
	v_and_b32_e32 v10, 0xffff0000, v10
	s_delay_alu instid0(VALU_DEP_2) | instskip(SKIP_1) | instid1(VALU_DEP_2)
	v_mov_b32_e32 v60, v61
	s_mov_b32 s2, exec_lo
	v_add_f32_e32 v10, v43, v10
	s_delay_alu instid0(VALU_DEP_1)
	v_mov_b32_e32 v62, v10
	v_cmpx_ngt_f32_e32 v10, v61
	s_cbranch_execz .LBB10_117
; %bb.114:
	s_mov_b32 s3, exec_lo
	v_cmpx_gt_f32_e32 v10, v59
; %bb.115:
	v_mov_b32_e32 v59, v10
; %bb.116:
	s_or_b32 exec_lo, exec_lo, s3
	s_delay_alu instid0(VALU_DEP_1)
	v_mov_b32_e32 v60, v59
	v_mov_b32_e32 v62, v61
.LBB10_117:
	s_or_b32 exec_lo, exec_lo, s2
	v_lshlrev_b32_e32 v59, 16, v11
	s_delay_alu instid0(VALU_DEP_2) | instskip(SKIP_1) | instid1(VALU_DEP_2)
	v_mov_b32_e32 v61, v62
	s_mov_b32 s2, exec_lo
	v_add_f32_e32 v59, v26, v59
	s_delay_alu instid0(VALU_DEP_1)
	v_mov_b32_e32 v63, v59
	v_cmpx_ngt_f32_e32 v59, v62
	s_cbranch_execz .LBB10_121
; %bb.118:
	s_mov_b32 s3, exec_lo
	v_cmpx_gt_f32_e32 v59, v60
; %bb.119:
	v_mov_b32_e32 v60, v59
; %bb.120:
	s_or_b32 exec_lo, exec_lo, s3
	s_delay_alu instid0(VALU_DEP_1)
	v_mov_b32_e32 v61, v60
	v_mov_b32_e32 v63, v62
.LBB10_121:
	s_or_b32 exec_lo, exec_lo, s2
	s_delay_alu instid0(VALU_DEP_1) | instskip(SKIP_1) | instid1(VALU_DEP_1)
	v_dual_mov_b32 v62, v63 :: v_dual_and_b32 v11, 0xffff0000, v11
	s_mov_b32 s2, exec_lo
	v_add_f32_e32 v11, v44, v11
	s_delay_alu instid0(VALU_DEP_1)
	v_mov_b32_e32 v64, v11
	v_cmpx_ngt_f32_e32 v11, v63
	s_cbranch_execz .LBB10_125
; %bb.122:
	s_mov_b32 s3, exec_lo
	v_cmpx_gt_f32_e32 v11, v61
; %bb.123:
	v_mov_b32_e32 v61, v11
; %bb.124:
	s_or_b32 exec_lo, exec_lo, s3
	s_delay_alu instid0(VALU_DEP_1)
	v_mov_b32_e32 v62, v61
	v_mov_b32_e32 v64, v63
.LBB10_125:
	s_or_b32 exec_lo, exec_lo, s2
	s_delay_alu instid0(VALU_DEP_1) | instskip(SKIP_1) | instid1(VALU_DEP_1)
	v_dual_mov_b32 v63, v64 :: v_dual_lshlrev_b32 v60, 16, v4
	s_mov_b32 s2, exec_lo
	v_add_f32_e32 v60, v27, v60
	s_delay_alu instid0(VALU_DEP_1)
	v_mov_b32_e32 v65, v60
	v_cmpx_ngt_f32_e32 v60, v64
	s_cbranch_execz .LBB10_129
; %bb.126:
	s_mov_b32 s3, exec_lo
	v_cmpx_gt_f32_e32 v60, v62
; %bb.127:
	v_mov_b32_e32 v62, v60
; %bb.128:
	s_or_b32 exec_lo, exec_lo, s3
	s_delay_alu instid0(VALU_DEP_1)
	v_mov_b32_e32 v63, v62
	v_mov_b32_e32 v65, v64
.LBB10_129:
	s_or_b32 exec_lo, exec_lo, s2
	v_and_b32_e32 v4, 0xffff0000, v4
	s_mov_b32 s2, exec_lo
	s_delay_alu instid0(VALU_DEP_1) | instskip(SKIP_1) | instid1(VALU_DEP_2)
	v_add_f32_e32 v61, v45, v4
	v_mov_b32_e32 v4, v65
	v_mov_b32_e32 v66, v61
	v_cmpx_ngt_f32_e32 v61, v65
	s_cbranch_execz .LBB10_133
; %bb.130:
	s_mov_b32 s3, exec_lo
	v_cmpx_gt_f32_e32 v61, v63
; %bb.131:
	v_mov_b32_e32 v63, v61
; %bb.132:
	s_or_b32 exec_lo, exec_lo, s3
	s_delay_alu instid0(VALU_DEP_1)
	v_mov_b32_e32 v4, v63
	v_mov_b32_e32 v66, v65
.LBB10_133:
	s_or_b32 exec_lo, exec_lo, s2
	v_lshlrev_b32_e32 v62, 16, v5
	s_delay_alu instid0(VALU_DEP_2) | instskip(SKIP_1) | instid1(VALU_DEP_2)
	v_mov_b32_e32 v64, v66
	s_mov_b32 s2, exec_lo
	v_add_f32_e32 v62, v20, v62
	s_delay_alu instid0(VALU_DEP_1)
	v_mov_b32_e32 v65, v62
	v_cmpx_ngt_f32_e32 v62, v66
	s_cbranch_execz .LBB10_137
; %bb.134:
	s_mov_b32 s3, exec_lo
	v_cmpx_gt_f32_e32 v62, v4
; %bb.135:
	v_mov_b32_e32 v4, v62
; %bb.136:
	s_or_b32 exec_lo, exec_lo, s3
	s_delay_alu instid0(VALU_DEP_1)
	v_dual_mov_b32 v64, v4 :: v_dual_mov_b32 v65, v66
.LBB10_137:
	s_or_b32 exec_lo, exec_lo, s2
	v_and_b32_e32 v4, 0xffff0000, v5
	s_mov_b32 s2, exec_lo
	s_delay_alu instid0(VALU_DEP_1) | instskip(NEXT) | instid1(VALU_DEP_1)
	v_dual_add_f32 v63, v46, v4 :: v_dual_mov_b32 v4, v65
	v_mov_b32_e32 v66, v63
	v_cmpx_ngt_f32_e32 v63, v65
	s_cbranch_execz .LBB10_141
; %bb.138:
	s_mov_b32 s3, exec_lo
	v_cmpx_gt_f32_e32 v63, v64
; %bb.139:
	v_mov_b32_e32 v64, v63
; %bb.140:
	s_or_b32 exec_lo, exec_lo, s3
	s_delay_alu instid0(VALU_DEP_1)
	v_mov_b32_e32 v4, v64
	v_mov_b32_e32 v66, v65
.LBB10_141:
	s_or_b32 exec_lo, exec_lo, s2
	v_lshlrev_b32_e32 v5, 16, v6
	s_mov_b32 s2, exec_lo
	s_delay_alu instid0(VALU_DEP_1) | instskip(NEXT) | instid1(VALU_DEP_1)
	v_dual_add_f32 v64, v21, v5 :: v_dual_mov_b32 v5, v66
	v_mov_b32_e32 v65, v64
	v_cmpx_ngt_f32_e32 v64, v66
	s_cbranch_execz .LBB10_145
; %bb.142:
	s_mov_b32 s3, exec_lo
	v_cmpx_gt_f32_e32 v64, v4
; %bb.143:
	v_mov_b32_e32 v4, v64
; %bb.144:
	s_or_b32 exec_lo, exec_lo, s3
	s_delay_alu instid0(VALU_DEP_1)
	v_mov_b32_e32 v5, v4
	v_mov_b32_e32 v65, v66
.LBB10_145:
	s_or_b32 exec_lo, exec_lo, s2
	v_and_b32_e32 v4, 0xffff0000, v6
	s_mov_b32 s2, exec_lo
	s_delay_alu instid0(VALU_DEP_1) | instskip(SKIP_1) | instid1(VALU_DEP_2)
	v_add_f32_e32 v6, v47, v4
	v_mov_b32_e32 v4, v65
	v_mov_b32_e32 v66, v6
	v_cmpx_ngt_f32_e32 v6, v65
	s_cbranch_execz .LBB10_149
; %bb.146:
	s_mov_b32 s3, exec_lo
	v_cmpx_gt_f32_e32 v6, v5
; %bb.147:
	v_mov_b32_e32 v5, v6
; %bb.148:
	s_or_b32 exec_lo, exec_lo, s3
	s_delay_alu instid0(VALU_DEP_1)
	v_mov_b32_e32 v4, v5
	v_mov_b32_e32 v66, v65
.LBB10_149:
	s_or_b32 exec_lo, exec_lo, s2
	v_lshlrev_b32_e32 v5, 16, v7
	s_mov_b32 s2, exec_lo
	s_delay_alu instid0(VALU_DEP_1) | instskip(SKIP_1) | instid1(VALU_DEP_2)
	v_add_f32_e32 v65, v22, v5
	v_mov_b32_e32 v5, v66
	v_mov_b32_e32 v67, v65
	v_cmpx_ngt_f32_e32 v65, v66
	s_cbranch_execz .LBB10_153
; %bb.150:
	s_mov_b32 s3, exec_lo
	v_cmpx_gt_f32_e32 v65, v4
; %bb.151:
	v_mov_b32_e32 v4, v65
; %bb.152:
	s_or_b32 exec_lo, exec_lo, s3
	s_delay_alu instid0(VALU_DEP_1)
	v_mov_b32_e32 v5, v4
	v_mov_b32_e32 v67, v66
.LBB10_153:
	s_or_b32 exec_lo, exec_lo, s2
	v_and_b32_e32 v4, 0xffff0000, v7
	s_mov_b32 s2, exec_lo
	s_delay_alu instid0(VALU_DEP_1) | instskip(NEXT) | instid1(VALU_DEP_1)
	v_dual_add_f32 v7, v48, v4 :: v_dual_mov_b32 v4, v67
	v_mov_b32_e32 v68, v7
	v_cmpx_ngt_f32_e32 v7, v67
	s_cbranch_execz .LBB10_157
; %bb.154:
	s_mov_b32 s3, exec_lo
	v_cmpx_gt_f32_e32 v7, v5
; %bb.155:
	v_mov_b32_e32 v5, v7
; %bb.156:
	s_or_b32 exec_lo, exec_lo, s3
	s_delay_alu instid0(VALU_DEP_1)
	v_mov_b32_e32 v4, v5
	v_mov_b32_e32 v68, v67
.LBB10_157:
	s_or_b32 exec_lo, exec_lo, s2
	v_lshlrev_b32_e32 v5, 16, v0
	s_mov_b32 s2, exec_lo
	s_delay_alu instid0(VALU_DEP_1) | instskip(NEXT) | instid1(VALU_DEP_1)
	v_dual_add_f32 v66, v23, v5 :: v_dual_mov_b32 v5, v68
	v_mov_b32_e32 v69, v66
	v_cmpx_ngt_f32_e32 v66, v68
	s_cbranch_execz .LBB10_161
; %bb.158:
	s_mov_b32 s3, exec_lo
	v_cmpx_gt_f32_e32 v66, v4
; %bb.159:
	v_mov_b32_e32 v4, v66
; %bb.160:
	s_or_b32 exec_lo, exec_lo, s3
	s_delay_alu instid0(VALU_DEP_1)
	v_mov_b32_e32 v5, v4
	v_mov_b32_e32 v69, v68
.LBB10_161:
	s_or_b32 exec_lo, exec_lo, s2
	v_and_b32_e32 v0, 0xffff0000, v0
	s_mov_b32 s2, exec_lo
	s_delay_alu instid0(VALU_DEP_1) | instskip(SKIP_1) | instid1(VALU_DEP_2)
	v_add_f32_e32 v67, v49, v0
	v_mov_b32_e32 v0, v69
	v_mov_b32_e32 v70, v67
	v_cmpx_ngt_f32_e32 v67, v69
	s_cbranch_execz .LBB10_165
; %bb.162:
	s_mov_b32 s3, exec_lo
	v_cmpx_gt_f32_e32 v67, v5
; %bb.163:
	v_mov_b32_e32 v5, v67
; %bb.164:
	s_or_b32 exec_lo, exec_lo, s3
	s_delay_alu instid0(VALU_DEP_1)
	v_mov_b32_e32 v0, v5
	v_mov_b32_e32 v70, v69
.LBB10_165:
	s_or_b32 exec_lo, exec_lo, s2
	v_lshlrev_b32_e32 v4, 16, v1
	s_mov_b32 s2, exec_lo
	s_delay_alu instid0(VALU_DEP_1) | instskip(NEXT) | instid1(VALU_DEP_1)
	v_add_f32_e32 v68, v16, v4
	v_dual_mov_b32 v4, v70 :: v_dual_mov_b32 v5, v68
	v_cmpx_ngt_f32_e32 v68, v70
	s_cbranch_execz .LBB10_169
; %bb.166:
	s_mov_b32 s3, exec_lo
	v_cmpx_gt_f32_e32 v68, v0
; %bb.167:
	v_mov_b32_e32 v0, v68
; %bb.168:
	s_or_b32 exec_lo, exec_lo, s3
	s_delay_alu instid0(VALU_DEP_1)
	v_dual_mov_b32 v4, v0 :: v_dual_mov_b32 v5, v70
.LBB10_169:
	s_or_b32 exec_lo, exec_lo, s2
	v_and_b32_e32 v0, 0xffff0000, v1
	s_mov_b32 s2, exec_lo
	s_delay_alu instid0(VALU_DEP_1) | instskip(NEXT) | instid1(VALU_DEP_1)
	v_dual_add_f32 v69, v50, v0 :: v_dual_mov_b32 v0, v5
	v_mov_b32_e32 v71, v69
	v_cmpx_ngt_f32_e32 v69, v5
	s_cbranch_execz .LBB10_173
; %bb.170:
	s_mov_b32 s3, exec_lo
	v_cmpx_gt_f32_e32 v69, v4
; %bb.171:
	v_mov_b32_e32 v4, v69
; %bb.172:
	s_or_b32 exec_lo, exec_lo, s3
	s_delay_alu instid0(VALU_DEP_1)
	v_dual_mov_b32 v0, v4 :: v_dual_mov_b32 v71, v5
.LBB10_173:
	s_or_b32 exec_lo, exec_lo, s2
	v_lshlrev_b32_e32 v1, 16, v2
	s_mov_b32 s2, exec_lo
	s_delay_alu instid0(VALU_DEP_1) | instskip(NEXT) | instid1(VALU_DEP_1)
	v_dual_add_f32 v70, v17, v1 :: v_dual_mov_b32 v1, v71
	v_mov_b32_e32 v4, v70
	v_cmpx_ngt_f32_e32 v70, v71
	s_cbranch_execz .LBB10_177
; %bb.174:
	s_mov_b32 s3, exec_lo
	v_cmpx_gt_f32_e32 v70, v0
; %bb.175:
	v_mov_b32_e32 v0, v70
; %bb.176:
	s_or_b32 exec_lo, exec_lo, s3
	s_delay_alu instid0(VALU_DEP_1)
	v_dual_mov_b32 v1, v0 :: v_dual_mov_b32 v4, v71
.LBB10_177:
	s_or_b32 exec_lo, exec_lo, s2
	v_and_b32_e32 v0, 0xffff0000, v2
	s_mov_b32 s2, exec_lo
	s_delay_alu instid0(VALU_DEP_1) | instskip(NEXT) | instid1(VALU_DEP_1)
	v_dual_add_f32 v71, v51, v0 :: v_dual_mov_b32 v0, v4
	v_mov_b32_e32 v2, v71
	v_cmpx_ngt_f32_e32 v71, v4
	s_cbranch_execz .LBB10_181
; %bb.178:
	s_mov_b32 s3, exec_lo
	v_cmpx_gt_f32_e32 v71, v1
; %bb.179:
	v_mov_b32_e32 v1, v71
; %bb.180:
	s_or_b32 exec_lo, exec_lo, s3
	s_delay_alu instid0(VALU_DEP_1)
	v_mov_b32_e32 v0, v1
	v_mov_b32_e32 v2, v4
.LBB10_181:
	s_or_b32 exec_lo, exec_lo, s2
	v_lshlrev_b32_e32 v1, 16, v3
	s_mov_b32 s2, exec_lo
	s_delay_alu instid0(VALU_DEP_1) | instskip(NEXT) | instid1(VALU_DEP_1)
	v_add_f32_e32 v72, v18, v1
	v_dual_mov_b32 v1, v2 :: v_dual_mov_b32 v4, v72
	v_cmpx_ngt_f32_e32 v72, v2
	s_cbranch_execz .LBB10_185
; %bb.182:
	s_mov_b32 s3, exec_lo
	v_cmpx_gt_f32_e32 v72, v0
; %bb.183:
	v_mov_b32_e32 v0, v72
; %bb.184:
	s_or_b32 exec_lo, exec_lo, s3
	s_delay_alu instid0(VALU_DEP_1)
	v_dual_mov_b32 v1, v0 :: v_dual_mov_b32 v4, v2
.LBB10_185:
	s_or_b32 exec_lo, exec_lo, s2
	v_and_b32_e32 v0, 0xffff0000, v3
	s_mov_b32 s2, exec_lo
	s_delay_alu instid0(VALU_DEP_1) | instskip(NEXT) | instid1(VALU_DEP_1)
	v_dual_add_f32 v73, v19, v0 :: v_dual_mov_b32 v0, v4
	v_mov_b32_e32 v2, v73
	v_cmpx_ngt_f32_e32 v73, v4
	s_cbranch_execz .LBB10_189
; %bb.186:
	s_mov_b32 s3, exec_lo
	v_cmpx_gt_f32_e32 v73, v1
; %bb.187:
	v_mov_b32_e32 v1, v73
; %bb.188:
	s_or_b32 exec_lo, exec_lo, s3
	s_delay_alu instid0(VALU_DEP_1)
	v_mov_b32_e32 v0, v1
	v_mov_b32_e32 v2, v4
.LBB10_189:
	s_or_b32 exec_lo, exec_lo, s2
	v_cmp_lt_i64_e64 s2, s[46:47], 4
	v_lshlrev_b32_e32 v74, 5, v34
	s_delay_alu instid0(VALU_DEP_2)
	s_and_b32 vcc_lo, exec_lo, s2
	s_cbranch_vccz .LBB10_192
; %bb.190:
	v_add_f32_e32 v0, v0, v2
	s_sub_u32 s4, 4, s46
	s_subb_u32 s5, 0, s47
	s_mov_b64 s[6:7], 0
	s_set_inst_prefetch_distance 0x1
	.p2align	6
.LBB10_191:                             ; =>This Inner Loop Header: Depth=1
	s_delay_alu instid0(VALU_DEP_1) | instskip(SKIP_1) | instid1(VALU_DEP_2)
	v_mov_b32_dpp v1, v0 quad_perm:[1,0,3,2] row_mask:0xf bank_mask:0xf
	v_mov_b32_dpp v2, v74 quad_perm:[1,0,3,2] row_mask:0xf bank_mask:0xf
	v_cmp_eq_f32_e32 vcc_lo, v0, v1
	s_delay_alu instid0(VALU_DEP_2) | instskip(SKIP_1) | instid1(VALU_DEP_2)
	v_cmp_lt_i32_e64 s2, v74, v2
	v_cmp_lt_f32_e64 s3, v0, v1
	s_and_b32 s2, s2, vcc_lo
	s_delay_alu instid0(VALU_DEP_1) | instid1(SALU_CYCLE_1)
	s_or_b32 vcc_lo, s3, s2
	s_add_u32 s6, s6, 1
	v_dual_cndmask_b32 v1, v1, v0 :: v_dual_cndmask_b32 v2, v2, v74
	s_addc_u32 s7, s7, 0
	s_delay_alu instid0(SALU_CYCLE_1) | instskip(NEXT) | instid1(VALU_DEP_2)
	v_cmp_le_i64_e64 s2, s[4:5], s[6:7]
	v_mov_b32_dpp v4, v1 quad_perm:[2,3,0,1] row_mask:0xf bank_mask:0xf
	s_delay_alu instid0(VALU_DEP_3) | instskip(NEXT) | instid1(VALU_DEP_2)
	v_mov_b32_dpp v3, v2 quad_perm:[2,3,0,1] row_mask:0xf bank_mask:0xf
	v_cmp_eq_f32_e32 vcc_lo, v1, v4
	s_delay_alu instid0(VALU_DEP_2) | instskip(NEXT) | instid1(VALU_DEP_1)
	v_min_i32_e32 v5, v2, v3
	v_cndmask_b32_e32 v3, v3, v5, vcc_lo
	v_cmp_lt_f32_e32 vcc_lo, v1, v4
	s_delay_alu instid0(VALU_DEP_2) | instskip(NEXT) | instid1(VALU_DEP_1)
	v_cndmask_b32_e32 v1, v3, v2, vcc_lo
	v_ashrrev_i32_e32 v2, 31, v1
	s_delay_alu instid0(VALU_DEP_1) | instskip(NEXT) | instid1(VALU_DEP_1)
	v_lshrrev_b32_e32 v2, 27, v2
	v_add_nc_u32_e32 v1, v1, v2
	s_delay_alu instid0(VALU_DEP_1) | instskip(NEXT) | instid1(VALU_DEP_1)
	v_ashrrev_i32_e32 v1, 5, v1
	v_cmp_eq_u32_e32 vcc_lo, v34, v1
	v_cndmask_b32_e64 v12, v12, 0x7f7fffff, vcc_lo
	v_cndmask_b32_e64 v0, v0, 0x7f7fffff, vcc_lo
	s_and_b32 vcc_lo, exec_lo, s2
	s_cbranch_vccz .LBB10_191
.LBB10_192:
	s_set_inst_prefetch_distance 0x2
	s_sub_u32 s36, s48, s50
	s_subb_u32 s37, s49, s51
	s_mov_b64 s[2:3], src_shared_base
	s_cmp_lg_u32 0, -1
	v_and_b32_e32 v4, 0x3fc, v41
	s_cselect_b32 s2, s3, 0
	s_cselect_b32 s3, 0, 0
	s_load_b32 s35, s[0:1], 0x48
	s_add_u32 s4, s3, 0xff
	s_addc_u32 s3, s2, 0
	s_and_b32 s2, s4, 0xffffff00
	s_delay_alu instid0(SALU_CYCLE_1) | instskip(SKIP_1) | instid1(VALU_DEP_1)
	v_mad_u64_u32 v[0:1], null, v4, s48, s[2:3]
	v_cmp_lt_i64_e64 s2, s[36:37], 1
	s_and_b32 vcc_lo, exec_lo, s2
	s_delay_alu instid0(VALU_DEP_2) | instskip(SKIP_1) | instid1(VALU_DEP_2)
	v_mad_u64_u32 v[2:3], null, v4, s49, v[1:2]
	v_cmp_eq_u32_e64 s2, 0, v34
	v_mov_b32_e32 v1, v2
	s_cbranch_vccnz .LBB10_203
; %bb.193:
	s_waitcnt lgkmcnt(0)
	v_mad_u64_u32 v[2:3], null, s35, v32, 0
	s_ashr_i32 s3, s35, 31
	v_mul_u32_u24_e32 v75, 32, v34
	v_mov_b32_e32 v41, 0
	s_mov_b64 s[38:39], 0
	s_delay_alu instid0(VALU_DEP_3) | instskip(NEXT) | instid1(VALU_DEP_1)
	v_mad_u64_u32 v[4:5], null, s3, v32, v[3:4]
	v_mov_b32_e32 v3, v4
	v_dual_mov_b32 v5, v1 :: v_dual_mov_b32 v4, v0
	s_delay_alu instid0(VALU_DEP_2) | instskip(NEXT) | instid1(VALU_DEP_1)
	v_lshlrev_b64 v[2:3], 2, v[2:3]
	v_add_co_u32 v2, vcc_lo, s42, v2
	s_delay_alu instid0(VALU_DEP_2)
	v_add_co_ci_u32_e32 v3, vcc_lo, s43, v3, vcc_lo
	s_branch .LBB10_195
.LBB10_194:                             ;   in Loop: Header=BB10_195 Depth=1
	s_or_b32 exec_lo, exec_lo, s3
	s_add_u32 s38, s38, 1
	s_addc_u32 s39, s39, 0
	v_add_co_u32 v2, vcc_lo, v2, 4
	v_cmp_le_i64_e64 s3, s[36:37], s[38:39]
	v_add_co_ci_u32_e32 v3, vcc_lo, 0, v3, vcc_lo
	v_add_co_u32 v4, vcc_lo, v4, 4
	v_add_co_ci_u32_e32 v5, vcc_lo, 0, v5, vcc_lo
	s_delay_alu instid0(VALU_DEP_4)
	s_and_b32 vcc_lo, exec_lo, s3
	s_cbranch_vccnz .LBB10_204
.LBB10_195:                             ; =>This Inner Loop Header: Depth=1
	v_dual_mov_b32 v76, 0xff7fffff :: v_dual_mov_b32 v77, v74
	s_mov_b32 s3, exec_lo
	v_cmpx_neq_f32_e32 0x7f7fffff, v12
	s_cbranch_execz .LBB10_197
; %bb.196:                              ;   in Loop: Header=BB10_195 Depth=1
	v_cmp_gt_f32_e32 vcc_lo, v52, v12
	v_cndmask_b32_e32 v76, v12, v52, vcc_lo
	v_cndmask_b32_e64 v77, 0, 1, vcc_lo
	s_delay_alu instid0(VALU_DEP_2) | instskip(SKIP_1) | instid1(VALU_DEP_3)
	v_cmp_gt_f32_e32 vcc_lo, v53, v76
	v_cndmask_b32_e32 v76, v76, v53, vcc_lo
	v_cndmask_b32_e64 v77, v77, 2, vcc_lo
	s_delay_alu instid0(VALU_DEP_2) | instskip(SKIP_1) | instid1(VALU_DEP_3)
	;; [unrolled: 4-line block ×29, first 2 shown]
	v_cmp_gt_f32_e32 vcc_lo, v72, v76
	v_cndmask_b32_e32 v76, v76, v72, vcc_lo
	v_cndmask_b32_e64 v77, v77, 30, vcc_lo
	s_delay_alu instid0(VALU_DEP_2) | instskip(NEXT) | instid1(VALU_DEP_2)
	v_cmp_gt_f32_e32 vcc_lo, v73, v76
	v_cndmask_b32_e64 v77, v77, 31, vcc_lo
	v_cndmask_b32_e32 v76, v76, v73, vcc_lo
	s_delay_alu instid0(VALU_DEP_2)
	v_or_b32_e32 v77, v77, v74
.LBB10_197:                             ;   in Loop: Header=BB10_195 Depth=1
	s_or_b32 exec_lo, exec_lo, s3
	s_delay_alu instid0(VALU_DEP_2) | instskip(NEXT) | instid1(VALU_DEP_2)
	v_mov_b32_dpp v78, v76 quad_perm:[1,0,3,2] row_mask:0xf bank_mask:0xf
	v_mov_b32_dpp v79, v77 quad_perm:[1,0,3,2] row_mask:0xf bank_mask:0xf
	s_mov_b32 s44, exec_lo
	s_delay_alu instid0(VALU_DEP_2) | instskip(NEXT) | instid1(VALU_DEP_2)
	v_cmp_eq_f32_e32 vcc_lo, v76, v78
	v_cmp_lt_i32_e64 s3, v77, v79
	v_cmp_gt_f32_e64 s4, v76, v78
	s_delay_alu instid0(VALU_DEP_2)
	s_and_b32 s3, vcc_lo, s3
	s_delay_alu instid0(VALU_DEP_1) | instid1(SALU_CYCLE_1)
	s_or_b32 vcc_lo, s4, s3
	v_dual_cndmask_b32 v76, v78, v76 :: v_dual_cndmask_b32 v77, v79, v77
	s_delay_alu instid0(VALU_DEP_1) | instskip(NEXT) | instid1(VALU_DEP_2)
	v_mov_b32_dpp v79, v76 quad_perm:[2,3,0,1] row_mask:0xf bank_mask:0xf
	v_mov_b32_dpp v78, v77 quad_perm:[2,3,0,1] row_mask:0xf bank_mask:0xf
	s_delay_alu instid0(VALU_DEP_2) | instskip(NEXT) | instid1(VALU_DEP_2)
	v_cmp_eq_f32_e32 vcc_lo, v76, v79
	v_min_i32_e32 v80, v77, v78
	s_delay_alu instid0(VALU_DEP_1) | instskip(SKIP_1) | instid1(VALU_DEP_2)
	v_cndmask_b32_e32 v78, v78, v80, vcc_lo
	v_cmp_gt_f32_e32 vcc_lo, v76, v79
	v_cndmask_b32_e32 v76, v78, v77, vcc_lo
	s_delay_alu instid0(VALU_DEP_1) | instskip(NEXT) | instid1(VALU_DEP_1)
	v_ashrrev_i32_e32 v77, 31, v76
	v_lshrrev_b32_e32 v77, 27, v77
	s_delay_alu instid0(VALU_DEP_1) | instskip(NEXT) | instid1(VALU_DEP_1)
	v_add_nc_u32_e32 v77, v76, v77
	v_ashrrev_i32_e32 v77, 5, v77
	s_delay_alu instid0(VALU_DEP_1)
	v_cmpx_eq_u32_e64 v34, v77
	s_cbranch_execz .LBB10_201
; %bb.198:                              ;   in Loop: Header=BB10_195 Depth=1
	v_sub_nc_u32_e32 v77, v76, v75
	s_mov_b32 s45, exec_lo
	s_delay_alu instid0(VALU_DEP_1)
	v_cmp_eq_u32_e32 vcc_lo, 1, v77
	v_cmp_eq_u32_e64 s3, 2, v77
	v_cmp_eq_u32_e64 s4, 3, v77
	;; [unrolled: 1-line block ×30, first 2 shown]
	v_cmpx_gt_u32_e32 32, v77
	s_cbranch_execz .LBB10_200
; %bb.199:                              ;   in Loop: Header=BB10_195 Depth=1
	v_cndmask_b32_e32 v78, v35, v36, vcc_lo
	s_delay_alu instid0(VALU_DEP_1) | instskip(NEXT) | instid1(VALU_DEP_1)
	v_cndmask_b32_e64 v78, v78, v28, s3
	v_cndmask_b32_e64 v78, v78, v37, s4
	s_delay_alu instid0(VALU_DEP_1) | instskip(NEXT) | instid1(VALU_DEP_1)
	v_cndmask_b32_e64 v78, v78, v29, s5
	v_cndmask_b32_e64 v78, v78, v38, s6
	;; [unrolled: 3-line block ×15, first 2 shown]
	flat_store_b32 v[4:5], v78
.LBB10_200:                             ;   in Loop: Header=BB10_195 Depth=1
	s_or_b32 exec_lo, exec_lo, s45
	v_cmp_ne_u32_e64 s34, 0, v77
	v_cndmask_b32_e64 v52, v52, 0xff7fffff, vcc_lo
	v_cndmask_b32_e64 v53, v53, 0xff7fffff, s3
	v_cndmask_b32_e64 v13, v13, 0xff7fffff, s4
	;; [unrolled: 1-line block ×31, first 2 shown]
	global_store_b32 v[2:3], v76, off
.LBB10_201:                             ;   in Loop: Header=BB10_195 Depth=1
	s_or_b32 exec_lo, exec_lo, s44
	s_waitcnt lgkmcnt(0)
	s_waitcnt_vscnt null, 0x0
	s_barrier
	buffer_gl0_inv
	s_and_saveexec_b32 s3, s2
	s_cbranch_execz .LBB10_194
; %bb.202:                              ;   in Loop: Header=BB10_195 Depth=1
	flat_load_b32 v76, v[4:5]
	s_waitcnt vmcnt(0) lgkmcnt(0)
	v_add_f32_e32 v41, v41, v76
	s_branch .LBB10_194
.LBB10_203:
	v_mov_b32_e32 v41, 0
.LBB10_204:
	v_cmp_gt_i64_e64 s3, s[50:51], 0
	v_cmp_eq_u32_e64 s2, 0, v34
	s_delay_alu instid0(VALU_DEP_1) | instskip(NEXT) | instid1(SALU_CYCLE_1)
	s_and_b32 s4, s2, s3
	s_and_saveexec_b32 s3, s4
	s_cbranch_execz .LBB10_210
; %bb.205:
	v_dual_mov_b32 v2, v32 :: v_dual_mov_b32 v3, v33
	s_mov_b32 s4, exec_lo
	v_cmpx_le_u64_e64 s[50:51], v[32:33]
	s_cbranch_execz .LBB10_207
; %bb.206:
	v_cvt_f32_u32_e32 v2, s50
	s_sub_i32 s5, 0, s50
	s_delay_alu instid0(VALU_DEP_1) | instskip(SKIP_2) | instid1(VALU_DEP_1)
	v_rcp_iflag_f32_e32 v2, v2
	s_waitcnt_depctr 0xfff
	v_mul_f32_e32 v2, 0x4f7ffffe, v2
	v_cvt_u32_f32_e32 v2, v2
	s_delay_alu instid0(VALU_DEP_1) | instskip(NEXT) | instid1(VALU_DEP_1)
	v_mul_lo_u32 v3, s5, v2
	v_mul_hi_u32 v3, v2, v3
	s_delay_alu instid0(VALU_DEP_1) | instskip(NEXT) | instid1(VALU_DEP_1)
	v_add_nc_u32_e32 v2, v2, v3
	v_mul_hi_u32 v2, v32, v2
	s_delay_alu instid0(VALU_DEP_1) | instskip(NEXT) | instid1(VALU_DEP_1)
	v_mul_lo_u32 v2, v2, s50
	v_sub_nc_u32_e32 v2, v32, v2
	s_delay_alu instid0(VALU_DEP_1) | instskip(SKIP_1) | instid1(VALU_DEP_2)
	v_subrev_nc_u32_e32 v3, s50, v2
	v_cmp_le_u32_e32 vcc_lo, s50, v2
	v_cndmask_b32_e32 v2, v2, v3, vcc_lo
	s_delay_alu instid0(VALU_DEP_1) | instskip(SKIP_1) | instid1(VALU_DEP_2)
	v_subrev_nc_u32_e32 v3, s50, v2
	v_cmp_le_u32_e32 vcc_lo, s50, v2
	v_dual_cndmask_b32 v2, v2, v3 :: v_dual_mov_b32 v3, 0
.LBB10_207:
	s_or_b32 exec_lo, exec_lo, s4
	v_cvt_f64_f32_e32 v[4:5], v41
	s_load_b64 s[0:1], s[0:1], 0x40
	s_waitcnt lgkmcnt(0)
	s_delay_alu instid0(VALU_DEP_1) | instskip(SKIP_1) | instid1(VALU_DEP_2)
	v_div_scale_f64 v[6:7], null, s[0:1], s[0:1], v[4:5]
	v_div_scale_f64 v[12:13], vcc_lo, v[4:5], s[0:1], v[4:5]
	v_rcp_f64_e32 v[8:9], v[6:7]
	s_waitcnt_depctr 0xfff
	v_fma_f64 v[10:11], -v[6:7], v[8:9], 1.0
	s_delay_alu instid0(VALU_DEP_1) | instskip(NEXT) | instid1(VALU_DEP_1)
	v_fma_f64 v[8:9], v[8:9], v[10:11], v[8:9]
	v_fma_f64 v[10:11], -v[6:7], v[8:9], 1.0
	s_delay_alu instid0(VALU_DEP_1) | instskip(NEXT) | instid1(VALU_DEP_1)
	v_fma_f64 v[8:9], v[8:9], v[10:11], v[8:9]
	v_mul_f64 v[10:11], v[12:13], v[8:9]
	s_delay_alu instid0(VALU_DEP_1) | instskip(NEXT) | instid1(VALU_DEP_1)
	v_fma_f64 v[6:7], -v[6:7], v[10:11], v[12:13]
	v_div_fmas_f64 v[6:7], v[6:7], v[8:9], v[10:11]
	v_add_nc_u32_e32 v11, 0x80, v2
	s_delay_alu instid0(VALU_DEP_2) | instskip(SKIP_2) | instid1(VALU_DEP_2)
	v_div_fixup_f64 v[4:5], v[6:7], s[0:1], v[4:5]
	v_mad_u64_u32 v[6:7], null, s35, v32, s[36:37]
	s_ashr_i32 s0, s35, 31
	v_cvt_f32_f64_e32 v8, v[4:5]
	s_delay_alu instid0(VALU_DEP_2) | instskip(NEXT) | instid1(VALU_DEP_1)
	v_mov_b32_e32 v4, v7
	v_mad_u64_u32 v[9:10], null, s0, v32, v[4:5]
	v_cmp_lt_u64_e64 s0, s[50:51], 2
	s_delay_alu instid0(VALU_DEP_2) | instskip(NEXT) | instid1(VALU_DEP_1)
	v_mov_b32_e32 v7, v9
	v_lshlrev_b64 v[4:5], 2, v[6:7]
	s_delay_alu instid0(VALU_DEP_1) | instskip(NEXT) | instid1(VALU_DEP_2)
	v_add_co_u32 v6, vcc_lo, s42, v4
	v_add_co_ci_u32_e32 v7, vcc_lo, s43, v5, vcc_lo
	v_add_co_u32 v9, vcc_lo, s40, v4
	v_add_co_ci_u32_e32 v10, vcc_lo, s41, v5, vcc_lo
	s_and_b32 vcc_lo, exec_lo, s0
	global_store_b32 v[6:7], v11, off
	global_store_b32 v[9:10], v8, off
	s_cbranch_vccnz .LBB10_210
; %bb.208:
	v_add_co_u32 v6, vcc_lo, v4, 4
	v_add_co_ci_u32_e32 v7, vcc_lo, 0, v5, vcc_lo
	s_mov_b64 s[0:1], 1
	s_delay_alu instid0(VALU_DEP_2) | instskip(NEXT) | instid1(VALU_DEP_2)
	v_add_co_u32 v4, vcc_lo, s40, v6
	v_add_co_ci_u32_e32 v5, vcc_lo, s41, v7, vcc_lo
	v_add_co_u32 v6, vcc_lo, s42, v6
	v_add_co_ci_u32_e32 v7, vcc_lo, s43, v7, vcc_lo
	.p2align	6
.LBB10_209:                             ; =>This Inner Loop Header: Depth=1
	s_delay_alu instid0(VALU_DEP_2)
	v_add_co_u32 v9, vcc_lo, v2, 1
	v_add_co_ci_u32_e32 v10, vcc_lo, 0, v3, vcc_lo
	v_add_nc_u32_e32 v2, 0x81, v2
	s_add_u32 s0, s0, 1
	global_store_b32 v[4:5], v8, off
	v_add_co_u32 v4, vcc_lo, v4, 4
	s_addc_u32 s1, s1, 0
	v_add_co_ci_u32_e32 v5, vcc_lo, 0, v5, vcc_lo
	v_cmp_lt_u64_e64 s4, s[0:1], s[50:51]
	global_store_b32 v[6:7], v2, off
	v_add_co_u32 v6, vcc_lo, v6, 4
	v_dual_mov_b32 v2, v9 :: v_dual_mov_b32 v3, v10
	v_add_co_ci_u32_e32 v7, vcc_lo, 0, v7, vcc_lo
	s_and_b32 vcc_lo, exec_lo, s4
	s_cbranch_vccnz .LBB10_209
.LBB10_210:
	s_or_b32 exec_lo, exec_lo, s3
	v_cmp_gt_i64_e64 s3, s[48:49], 0
	s_mov_b64 s[0:1], 0
	s_waitcnt lgkmcnt(0)
	s_waitcnt_vscnt null, 0x0
	s_barrier
	buffer_gl0_inv
	s_and_b32 s2, s2, s3
	s_delay_alu instid0(SALU_CYCLE_1)
	s_and_b32 exec_lo, exec_lo, s2
	s_cbranch_execz .LBB10_217
; %bb.211:
	v_mad_u64_u32 v[2:3], null, s35, v32, 0
	s_ashr_i32 s2, s35, 31
	s_delay_alu instid0(VALU_DEP_1) | instid1(SALU_CYCLE_1)
	v_mad_u64_u32 v[4:5], null, s2, v32, v[3:4]
	v_cmp_lt_u64_e64 s2, s[48:49], 8
	s_delay_alu instid0(VALU_DEP_2) | instskip(NEXT) | instid1(VALU_DEP_1)
	v_mov_b32_e32 v3, v4
	v_lshlrev_b64 v[2:3], 2, v[2:3]
	s_delay_alu instid0(VALU_DEP_1) | instskip(NEXT) | instid1(VALU_DEP_2)
	v_add_co_u32 v2, vcc_lo, s40, v2
	v_add_co_ci_u32_e32 v3, vcc_lo, s41, v3, vcc_lo
	s_and_b32 vcc_lo, exec_lo, s2
	s_cbranch_vccnz .LBB10_214
; %bb.212:
	s_and_b32 s1, s49, 0x7fffffff
	s_and_b32 s0, s48, -8
	s_mov_b64 s[2:3], 0
	s_mov_b64 s[4:5], s[0:1]
.LBB10_213:                             ; =>This Inner Loop Header: Depth=1
	v_add_co_u32 v4, vcc_lo, v0, s2
	v_add_co_ci_u32_e32 v5, vcc_lo, s3, v1, vcc_lo
	flat_load_b32 v8, v[4:5]
	s_waitcnt vmcnt(0) lgkmcnt(0)
	v_div_scale_f32 v6, null, v41, v41, v8
	v_div_scale_f32 v10, vcc_lo, v8, v41, v8
	s_delay_alu instid0(VALU_DEP_2) | instskip(SKIP_2) | instid1(VALU_DEP_1)
	v_rcp_f32_e32 v7, v6
	s_waitcnt_depctr 0xfff
	v_fma_f32 v9, -v6, v7, 1.0
	v_fmac_f32_e32 v7, v9, v7
	s_delay_alu instid0(VALU_DEP_1) | instskip(NEXT) | instid1(VALU_DEP_1)
	v_mul_f32_e32 v9, v10, v7
	v_fma_f32 v11, -v6, v9, v10
	s_delay_alu instid0(VALU_DEP_1) | instskip(NEXT) | instid1(VALU_DEP_1)
	v_fmac_f32_e32 v9, v11, v7
	v_fma_f32 v6, -v6, v9, v10
	s_delay_alu instid0(VALU_DEP_1) | instskip(SKIP_2) | instid1(VALU_DEP_3)
	v_div_fmas_f32 v9, v6, v7, v9
	v_add_co_u32 v6, vcc_lo, v2, s2
	v_add_co_ci_u32_e32 v7, vcc_lo, s3, v3, vcc_lo
	v_div_fixup_f32 v8, v9, v41, v8
	s_add_u32 s2, s2, 32
	s_addc_u32 s3, s3, 0
	s_add_u32 s4, s4, -8
	s_addc_u32 s5, s5, -1
	global_store_b32 v[6:7], v8, off
	flat_load_b32 v8, v[4:5] offset:4
	s_cmp_lg_u64 s[4:5], 0
	s_waitcnt vmcnt(0) lgkmcnt(0)
	v_div_scale_f32 v9, null, v41, v41, v8
	v_div_scale_f32 v12, vcc_lo, v8, v41, v8
	s_delay_alu instid0(VALU_DEP_2) | instskip(SKIP_2) | instid1(VALU_DEP_1)
	v_rcp_f32_e32 v10, v9
	s_waitcnt_depctr 0xfff
	v_fma_f32 v11, -v9, v10, 1.0
	v_fmac_f32_e32 v10, v11, v10
	s_delay_alu instid0(VALU_DEP_1) | instskip(NEXT) | instid1(VALU_DEP_1)
	v_mul_f32_e32 v11, v12, v10
	v_fma_f32 v13, -v9, v11, v12
	s_delay_alu instid0(VALU_DEP_1) | instskip(NEXT) | instid1(VALU_DEP_1)
	v_fmac_f32_e32 v11, v13, v10
	v_fma_f32 v9, -v9, v11, v12
	s_delay_alu instid0(VALU_DEP_1) | instskip(NEXT) | instid1(VALU_DEP_1)
	v_div_fmas_f32 v9, v9, v10, v11
	v_div_fixup_f32 v8, v9, v41, v8
	global_store_b32 v[6:7], v8, off offset:4
	flat_load_b32 v8, v[4:5] offset:8
	s_waitcnt vmcnt(0) lgkmcnt(0)
	v_div_scale_f32 v9, null, v41, v41, v8
	v_div_scale_f32 v12, vcc_lo, v8, v41, v8
	s_delay_alu instid0(VALU_DEP_2) | instskip(SKIP_2) | instid1(VALU_DEP_1)
	v_rcp_f32_e32 v10, v9
	s_waitcnt_depctr 0xfff
	v_fma_f32 v11, -v9, v10, 1.0
	v_fmac_f32_e32 v10, v11, v10
	s_delay_alu instid0(VALU_DEP_1) | instskip(NEXT) | instid1(VALU_DEP_1)
	v_mul_f32_e32 v11, v12, v10
	v_fma_f32 v13, -v9, v11, v12
	s_delay_alu instid0(VALU_DEP_1) | instskip(NEXT) | instid1(VALU_DEP_1)
	v_fmac_f32_e32 v11, v13, v10
	v_fma_f32 v9, -v9, v11, v12
	s_delay_alu instid0(VALU_DEP_1) | instskip(NEXT) | instid1(VALU_DEP_1)
	v_div_fmas_f32 v9, v9, v10, v11
	v_div_fixup_f32 v8, v9, v41, v8
	global_store_b32 v[6:7], v8, off offset:8
	flat_load_b32 v8, v[4:5] offset:12
	;; [unrolled: 19-line block ×6, first 2 shown]
	s_waitcnt vmcnt(0) lgkmcnt(0)
	v_div_scale_f32 v5, null, v41, v41, v4
	v_div_scale_f32 v10, vcc_lo, v4, v41, v4
	s_delay_alu instid0(VALU_DEP_2) | instskip(SKIP_2) | instid1(VALU_DEP_1)
	v_rcp_f32_e32 v8, v5
	s_waitcnt_depctr 0xfff
	v_fma_f32 v9, -v5, v8, 1.0
	v_fmac_f32_e32 v8, v9, v8
	s_delay_alu instid0(VALU_DEP_1) | instskip(NEXT) | instid1(VALU_DEP_1)
	v_mul_f32_e32 v9, v10, v8
	v_fma_f32 v11, -v5, v9, v10
	s_delay_alu instid0(VALU_DEP_1) | instskip(NEXT) | instid1(VALU_DEP_1)
	v_fmac_f32_e32 v9, v11, v8
	v_fma_f32 v5, -v5, v9, v10
	s_delay_alu instid0(VALU_DEP_1) | instskip(NEXT) | instid1(VALU_DEP_1)
	v_div_fmas_f32 v5, v5, v8, v9
	v_div_fixup_f32 v4, v5, v41, v4
	global_store_b32 v[6:7], v4, off offset:28
	s_cbranch_scc1 .LBB10_213
.LBB10_214:
	s_and_b32 s2, s48, 7
	s_mov_b32 s3, 0
	s_delay_alu instid0(SALU_CYCLE_1)
	s_cmp_eq_u64 s[2:3], 0
	s_cbranch_scc1 .LBB10_217
; %bb.215:
	s_mov_b64 s[4:5], s[2:3]
	s_set_inst_prefetch_distance 0x1
	.p2align	6
.LBB10_216:                             ; =>This Inner Loop Header: Depth=1
	s_lshl_b64 s[6:7], s[0:1], 2
	s_add_i32 s2, s0, 1
	v_add_co_u32 v4, vcc_lo, v0, s6
	v_add_co_ci_u32_e32 v5, vcc_lo, s7, v1, vcc_lo
	s_add_u32 s4, s4, -1
	s_addc_u32 s5, s5, -1
	s_mov_b64 s[0:1], s[2:3]
	flat_load_b32 v6, v[4:5]
	s_cmp_lg_u64 s[4:5], 0
	s_waitcnt vmcnt(0) lgkmcnt(0)
	v_div_scale_f32 v4, null, v41, v41, v6
	v_div_scale_f32 v8, vcc_lo, v6, v41, v6
	s_delay_alu instid0(VALU_DEP_2) | instskip(SKIP_2) | instid1(VALU_DEP_1)
	v_rcp_f32_e32 v5, v4
	s_waitcnt_depctr 0xfff
	v_fma_f32 v7, -v4, v5, 1.0
	v_fmac_f32_e32 v5, v7, v5
	s_delay_alu instid0(VALU_DEP_1) | instskip(NEXT) | instid1(VALU_DEP_1)
	v_mul_f32_e32 v7, v8, v5
	v_fma_f32 v9, -v4, v7, v8
	s_delay_alu instid0(VALU_DEP_1) | instskip(NEXT) | instid1(VALU_DEP_1)
	v_fmac_f32_e32 v7, v9, v5
	v_fma_f32 v4, -v4, v7, v8
	s_delay_alu instid0(VALU_DEP_1) | instskip(SKIP_2) | instid1(VALU_DEP_3)
	v_div_fmas_f32 v7, v4, v5, v7
	v_add_co_u32 v4, vcc_lo, v2, s6
	v_add_co_ci_u32_e32 v5, vcc_lo, s7, v3, vcc_lo
	v_div_fixup_f32 v6, v7, v41, v6
	global_store_b32 v[4:5], v6, off
	s_cbranch_scc1 .LBB10_216
.LBB10_217:
	s_set_inst_prefetch_distance 0x2
	s_nop 0
	s_sendmsg sendmsg(MSG_DEALLOC_VGPRS)
	s_endpgm
	.section	.rodata,"a",@progbits
	.p2align	6, 0x0
	.amdhsa_kernel _Z21moe_fused_gate_kernelItLi32ELi128ELi4ELi1EEvPvS0_PfPilllldi
		.amdhsa_group_segment_fixed_size 0
		.amdhsa_private_segment_fixed_size 0
		.amdhsa_kernarg_size 76
		.amdhsa_user_sgpr_count 15
		.amdhsa_user_sgpr_dispatch_ptr 0
		.amdhsa_user_sgpr_queue_ptr 0
		.amdhsa_user_sgpr_kernarg_segment_ptr 1
		.amdhsa_user_sgpr_dispatch_id 0
		.amdhsa_user_sgpr_private_segment_size 0
		.amdhsa_wavefront_size32 1
		.amdhsa_uses_dynamic_stack 0
		.amdhsa_enable_private_segment 0
		.amdhsa_system_sgpr_workgroup_id_x 1
		.amdhsa_system_sgpr_workgroup_id_y 0
		.amdhsa_system_sgpr_workgroup_id_z 0
		.amdhsa_system_sgpr_workgroup_info 0
		.amdhsa_system_vgpr_workitem_id 1
		.amdhsa_next_free_vgpr 81
		.amdhsa_next_free_sgpr 52
		.amdhsa_reserve_vcc 1
		.amdhsa_float_round_mode_32 0
		.amdhsa_float_round_mode_16_64 0
		.amdhsa_float_denorm_mode_32 3
		.amdhsa_float_denorm_mode_16_64 3
		.amdhsa_dx10_clamp 1
		.amdhsa_ieee_mode 1
		.amdhsa_fp16_overflow 0
		.amdhsa_workgroup_processor_mode 1
		.amdhsa_memory_ordered 1
		.amdhsa_forward_progress 0
		.amdhsa_shared_vgpr_count 0
		.amdhsa_exception_fp_ieee_invalid_op 0
		.amdhsa_exception_fp_denorm_src 0
		.amdhsa_exception_fp_ieee_div_zero 0
		.amdhsa_exception_fp_ieee_overflow 0
		.amdhsa_exception_fp_ieee_underflow 0
		.amdhsa_exception_fp_ieee_inexact 0
		.amdhsa_exception_int_div_zero 0
	.end_amdhsa_kernel
	.section	.text._Z21moe_fused_gate_kernelItLi32ELi128ELi4ELi1EEvPvS0_PfPilllldi,"axG",@progbits,_Z21moe_fused_gate_kernelItLi32ELi128ELi4ELi1EEvPvS0_PfPilllldi,comdat
.Lfunc_end10:
	.size	_Z21moe_fused_gate_kernelItLi32ELi128ELi4ELi1EEvPvS0_PfPilllldi, .Lfunc_end10-_Z21moe_fused_gate_kernelItLi32ELi128ELi4ELi1EEvPvS0_PfPilllldi
                                        ; -- End function
	.section	.AMDGPU.csdata,"",@progbits
; Kernel info:
; codeLenInByte = 13976
; NumSgprs: 54
; NumVgprs: 81
; ScratchSize: 0
; MemoryBound: 1
; FloatMode: 240
; IeeeMode: 1
; LDSByteSize: 0 bytes/workgroup (compile time only)
; SGPRBlocks: 6
; VGPRBlocks: 10
; NumSGPRsForWavesPerEU: 54
; NumVGPRsForWavesPerEU: 81
; Occupancy: 16
; WaveLimiterHint : 0
; COMPUTE_PGM_RSRC2:SCRATCH_EN: 0
; COMPUTE_PGM_RSRC2:USER_SGPR: 15
; COMPUTE_PGM_RSRC2:TRAP_HANDLER: 0
; COMPUTE_PGM_RSRC2:TGID_X_EN: 1
; COMPUTE_PGM_RSRC2:TGID_Y_EN: 0
; COMPUTE_PGM_RSRC2:TGID_Z_EN: 0
; COMPUTE_PGM_RSRC2:TIDIG_COMP_CNT: 1
	.section	.text._Z21moe_fused_gate_kernelIDF16_Li32ELi128ELi4ELi1EEvPvS0_PfPilllldi,"axG",@progbits,_Z21moe_fused_gate_kernelIDF16_Li32ELi128ELi4ELi1EEvPvS0_PfPilllldi,comdat
	.protected	_Z21moe_fused_gate_kernelIDF16_Li32ELi128ELi4ELi1EEvPvS0_PfPilllldi ; -- Begin function _Z21moe_fused_gate_kernelIDF16_Li32ELi128ELi4ELi1EEvPvS0_PfPilllldi
	.globl	_Z21moe_fused_gate_kernelIDF16_Li32ELi128ELi4ELi1EEvPvS0_PfPilllldi
	.p2align	8
	.type	_Z21moe_fused_gate_kernelIDF16_Li32ELi128ELi4ELi1EEvPvS0_PfPilllldi,@function
_Z21moe_fused_gate_kernelIDF16_Li32ELi128ELi4ELi1EEvPvS0_PfPilllldi: ; @_Z21moe_fused_gate_kernelIDF16_Li32ELi128ELi4ELi1EEvPvS0_PfPilllldi
; %bb.0:
	s_load_b512 s[36:51], s[0:1], 0x0
	v_bfe_u32 v1, v0, 10, 10
	v_and_b32_e32 v41, 0x3ff, v0
	s_mov_b32 s2, exec_lo
	s_delay_alu instid0(VALU_DEP_2) | instskip(NEXT) | instid1(VALU_DEP_2)
	v_dual_mov_b32 v35, 0 :: v_dual_add_nc_u32 v0, s15, v1
	v_lshrrev_b32_e32 v1, 2, v41
	s_delay_alu instid0(VALU_DEP_2) | instskip(NEXT) | instid1(VALU_DEP_2)
	v_mov_b32_e32 v33, v35
	v_lshl_add_u32 v32, v0, 3, v1
	s_waitcnt lgkmcnt(0)
	s_delay_alu instid0(VALU_DEP_1)
	v_cmpx_gt_i64_e64 s[44:45], v[32:33]
	s_cbranch_execz .LBB11_217
; %bb.1:
	v_lshlrev_b64 v[0:1], 8, v[32:33]
	v_and_b32_e32 v34, 3, v41
	s_mov_b32 s2, exec_lo
	s_delay_alu instid0(VALU_DEP_1) | instskip(NEXT) | instid1(VALU_DEP_3)
	v_lshlrev_b32_e32 v12, 6, v34
	v_add_co_u32 v0, vcc_lo, s36, v0
	s_delay_alu instid0(VALU_DEP_4) | instskip(NEXT) | instid1(VALU_DEP_2)
	v_add_co_ci_u32_e32 v1, vcc_lo, s37, v1, vcc_lo
	v_add_co_u32 v0, vcc_lo, v0, v12
	s_delay_alu instid0(VALU_DEP_2)
	v_add_co_ci_u32_e32 v1, vcc_lo, 0, v1, vcc_lo
	s_clause 0x3
	global_load_b128 v[24:27], v[0:1], off offset:16
	global_load_b128 v[28:31], v[0:1], off
	global_load_b128 v[16:19], v[0:1], off offset:48
	global_load_b128 v[20:23], v[0:1], off offset:32
	s_clause 0x3
	global_load_b128 v[0:3], v12, s[38:39] offset:48
	global_load_b128 v[4:7], v12, s[38:39] offset:32
	;; [unrolled: 1-line block ×3, first 2 shown]
	global_load_b128 v[12:15], v12, s[38:39]
	s_waitcnt vmcnt(6)
	v_cmpx_o_f16_e32 v28, v28
	s_cbranch_execz .LBB11_3
; %bb.2:
	v_cvt_f32_f16_e64 v35, -v28
	s_mov_b32 s3, 0x3fb8aa3b
	s_delay_alu instid0(VALU_DEP_1) | instskip(SKIP_1) | instid1(VALU_DEP_2)
	v_mul_f32_e32 v36, 0x3fb8aa3b, v35
	v_cmp_ngt_f32_e32 vcc_lo, 0xc2ce8ed0, v35
	v_rndne_f32_e32 v37, v36
	v_fma_mix_f32 v38, -v28, s3, -v36 op_sel_hi:[1,0,0]
	s_mov_b32 s3, 0x32a5705f
	s_delay_alu instid0(VALU_DEP_2) | instskip(NEXT) | instid1(VALU_DEP_2)
	v_sub_f32_e32 v36, v36, v37
	v_fma_mix_f32 v38, -v28, s3, v38 op_sel_hi:[1,0,0]
	v_cvt_i32_f32_e32 v37, v37
	s_delay_alu instid0(VALU_DEP_2) | instskip(NEXT) | instid1(VALU_DEP_1)
	v_add_f32_e32 v36, v36, v38
	v_exp_f32_e32 v36, v36
	s_waitcnt_depctr 0xfff
	v_ldexp_f32 v36, v36, v37
	s_delay_alu instid0(VALU_DEP_1) | instskip(SKIP_1) | instid1(VALU_DEP_2)
	v_cndmask_b32_e32 v36, 0, v36, vcc_lo
	v_cmp_nlt_f32_e32 vcc_lo, 0x42b17218, v35
	v_cndmask_b32_e32 v35, 0x7f800000, v36, vcc_lo
	s_delay_alu instid0(VALU_DEP_1) | instskip(NEXT) | instid1(VALU_DEP_1)
	v_add_f32_e32 v35, 1.0, v35
	v_div_scale_f32 v36, null, v35, v35, 1.0
	s_delay_alu instid0(VALU_DEP_1) | instskip(SKIP_2) | instid1(VALU_DEP_1)
	v_rcp_f32_e32 v37, v36
	s_waitcnt_depctr 0xfff
	v_fma_f32 v38, -v36, v37, 1.0
	v_fmac_f32_e32 v37, v38, v37
	v_div_scale_f32 v38, vcc_lo, 1.0, v35, 1.0
	s_delay_alu instid0(VALU_DEP_1) | instskip(NEXT) | instid1(VALU_DEP_1)
	v_mul_f32_e32 v39, v38, v37
	v_fma_f32 v40, -v36, v39, v38
	s_delay_alu instid0(VALU_DEP_1) | instskip(NEXT) | instid1(VALU_DEP_1)
	v_fmac_f32_e32 v39, v40, v37
	v_fma_f32 v36, -v36, v39, v38
	s_delay_alu instid0(VALU_DEP_1) | instskip(NEXT) | instid1(VALU_DEP_1)
	v_div_fmas_f32 v36, v36, v37, v39
	v_div_fixup_f32 v35, v36, v35, 1.0
.LBB11_3:
	s_or_b32 exec_lo, exec_lo, s2
	v_lshrrev_b32_e32 v37, 16, v28
	v_mov_b32_e32 v28, 0
	v_mov_b32_e32 v36, 0
	s_mov_b32 s2, exec_lo
	s_delay_alu instid0(VALU_DEP_3)
	v_cmpx_o_f16_e32 v37, v37
	s_cbranch_execz .LBB11_5
; %bb.4:
	v_cvt_f32_f16_e64 v36, -v37
	s_mov_b32 s3, 0x3fb8aa3b
	s_delay_alu instid0(VALU_DEP_1) | instskip(SKIP_1) | instid1(VALU_DEP_1)
	v_cmp_ngt_f32_e32 vcc_lo, 0xc2ce8ed0, v36
	v_mul_f32_e32 v38, 0x3fb8aa3b, v36
	v_rndne_f32_e32 v39, v38
	v_fma_mix_f32 v40, -v37, s3, -v38 op_sel_hi:[1,0,0]
	s_mov_b32 s3, 0x32a5705f
	s_delay_alu instid0(VALU_DEP_2) | instskip(NEXT) | instid1(VALU_DEP_2)
	v_sub_f32_e32 v38, v38, v39
	v_fma_mix_f32 v37, -v37, s3, v40 op_sel_hi:[1,0,0]
	s_delay_alu instid0(VALU_DEP_1) | instskip(SKIP_1) | instid1(VALU_DEP_2)
	v_add_f32_e32 v37, v38, v37
	v_cvt_i32_f32_e32 v38, v39
	v_exp_f32_e32 v37, v37
	s_waitcnt_depctr 0xfff
	v_ldexp_f32 v37, v37, v38
	s_delay_alu instid0(VALU_DEP_1) | instskip(SKIP_1) | instid1(VALU_DEP_2)
	v_cndmask_b32_e32 v37, 0, v37, vcc_lo
	v_cmp_nlt_f32_e32 vcc_lo, 0x42b17218, v36
	v_cndmask_b32_e32 v36, 0x7f800000, v37, vcc_lo
	s_delay_alu instid0(VALU_DEP_1) | instskip(NEXT) | instid1(VALU_DEP_1)
	v_add_f32_e32 v36, 1.0, v36
	v_div_scale_f32 v37, null, v36, v36, 1.0
	s_delay_alu instid0(VALU_DEP_1) | instskip(SKIP_2) | instid1(VALU_DEP_1)
	v_rcp_f32_e32 v38, v37
	s_waitcnt_depctr 0xfff
	v_fma_f32 v39, -v37, v38, 1.0
	v_fmac_f32_e32 v38, v39, v38
	v_div_scale_f32 v39, vcc_lo, 1.0, v36, 1.0
	s_delay_alu instid0(VALU_DEP_1) | instskip(NEXT) | instid1(VALU_DEP_1)
	v_mul_f32_e32 v40, v39, v38
	v_fma_f32 v42, -v37, v40, v39
	s_delay_alu instid0(VALU_DEP_1) | instskip(NEXT) | instid1(VALU_DEP_1)
	v_fmac_f32_e32 v40, v42, v38
	v_fma_f32 v37, -v37, v40, v39
	s_delay_alu instid0(VALU_DEP_1) | instskip(NEXT) | instid1(VALU_DEP_1)
	v_div_fmas_f32 v37, v37, v38, v40
	v_div_fixup_f32 v36, v37, v36, 1.0
.LBB11_5:
	s_or_b32 exec_lo, exec_lo, s2
	s_delay_alu instid0(SALU_CYCLE_1)
	s_mov_b32 s2, exec_lo
	v_cmpx_o_f16_e32 v29, v29
	s_cbranch_execz .LBB11_7
; %bb.6:
	v_cvt_f32_f16_e64 v28, -v29
	s_mov_b32 s3, 0x3fb8aa3b
	s_delay_alu instid0(VALU_DEP_1) | instskip(SKIP_1) | instid1(VALU_DEP_2)
	v_mul_f32_e32 v37, 0x3fb8aa3b, v28
	v_cmp_ngt_f32_e32 vcc_lo, 0xc2ce8ed0, v28
	v_rndne_f32_e32 v38, v37
	v_fma_mix_f32 v39, -v29, s3, -v37 op_sel_hi:[1,0,0]
	s_mov_b32 s3, 0x32a5705f
	s_delay_alu instid0(VALU_DEP_2) | instskip(NEXT) | instid1(VALU_DEP_2)
	v_sub_f32_e32 v37, v37, v38
	v_fma_mix_f32 v39, -v29, s3, v39 op_sel_hi:[1,0,0]
	v_cvt_i32_f32_e32 v38, v38
	s_delay_alu instid0(VALU_DEP_2) | instskip(NEXT) | instid1(VALU_DEP_1)
	v_add_f32_e32 v37, v37, v39
	v_exp_f32_e32 v37, v37
	s_waitcnt_depctr 0xfff
	v_ldexp_f32 v37, v37, v38
	s_delay_alu instid0(VALU_DEP_1) | instskip(SKIP_1) | instid1(VALU_DEP_2)
	v_cndmask_b32_e32 v37, 0, v37, vcc_lo
	v_cmp_nlt_f32_e32 vcc_lo, 0x42b17218, v28
	v_cndmask_b32_e32 v28, 0x7f800000, v37, vcc_lo
	s_delay_alu instid0(VALU_DEP_1) | instskip(NEXT) | instid1(VALU_DEP_1)
	v_add_f32_e32 v28, 1.0, v28
	v_div_scale_f32 v37, null, v28, v28, 1.0
	s_delay_alu instid0(VALU_DEP_1) | instskip(SKIP_2) | instid1(VALU_DEP_1)
	v_rcp_f32_e32 v38, v37
	s_waitcnt_depctr 0xfff
	v_fma_f32 v39, -v37, v38, 1.0
	v_fmac_f32_e32 v38, v39, v38
	v_div_scale_f32 v39, vcc_lo, 1.0, v28, 1.0
	s_delay_alu instid0(VALU_DEP_1) | instskip(NEXT) | instid1(VALU_DEP_1)
	v_mul_f32_e32 v40, v39, v38
	v_fma_f32 v42, -v37, v40, v39
	s_delay_alu instid0(VALU_DEP_1) | instskip(NEXT) | instid1(VALU_DEP_1)
	v_fmac_f32_e32 v40, v42, v38
	v_fma_f32 v37, -v37, v40, v39
	s_delay_alu instid0(VALU_DEP_1) | instskip(NEXT) | instid1(VALU_DEP_1)
	v_div_fmas_f32 v37, v37, v38, v40
	v_div_fixup_f32 v28, v37, v28, 1.0
.LBB11_7:
	s_or_b32 exec_lo, exec_lo, s2
	v_lshrrev_b32_e32 v38, 16, v29
	v_mov_b32_e32 v29, 0
	v_mov_b32_e32 v37, 0
	s_mov_b32 s2, exec_lo
	s_delay_alu instid0(VALU_DEP_3)
	v_cmpx_o_f16_e32 v38, v38
	s_cbranch_execz .LBB11_9
; %bb.8:
	v_cvt_f32_f16_e64 v37, -v38
	s_mov_b32 s3, 0x3fb8aa3b
	s_delay_alu instid0(VALU_DEP_1) | instskip(SKIP_1) | instid1(VALU_DEP_1)
	v_cmp_ngt_f32_e32 vcc_lo, 0xc2ce8ed0, v37
	v_mul_f32_e32 v39, 0x3fb8aa3b, v37
	v_rndne_f32_e32 v40, v39
	v_fma_mix_f32 v42, -v38, s3, -v39 op_sel_hi:[1,0,0]
	s_mov_b32 s3, 0x32a5705f
	s_delay_alu instid0(VALU_DEP_2) | instskip(NEXT) | instid1(VALU_DEP_2)
	v_sub_f32_e32 v39, v39, v40
	v_fma_mix_f32 v38, -v38, s3, v42 op_sel_hi:[1,0,0]
	s_delay_alu instid0(VALU_DEP_1) | instskip(SKIP_1) | instid1(VALU_DEP_2)
	v_add_f32_e32 v38, v39, v38
	v_cvt_i32_f32_e32 v39, v40
	v_exp_f32_e32 v38, v38
	s_waitcnt_depctr 0xfff
	v_ldexp_f32 v38, v38, v39
	s_delay_alu instid0(VALU_DEP_1) | instskip(SKIP_1) | instid1(VALU_DEP_2)
	v_cndmask_b32_e32 v38, 0, v38, vcc_lo
	v_cmp_nlt_f32_e32 vcc_lo, 0x42b17218, v37
	v_cndmask_b32_e32 v37, 0x7f800000, v38, vcc_lo
	s_delay_alu instid0(VALU_DEP_1) | instskip(NEXT) | instid1(VALU_DEP_1)
	v_add_f32_e32 v37, 1.0, v37
	v_div_scale_f32 v38, null, v37, v37, 1.0
	s_delay_alu instid0(VALU_DEP_1) | instskip(SKIP_2) | instid1(VALU_DEP_1)
	v_rcp_f32_e32 v39, v38
	s_waitcnt_depctr 0xfff
	v_fma_f32 v40, -v38, v39, 1.0
	v_fmac_f32_e32 v39, v40, v39
	v_div_scale_f32 v40, vcc_lo, 1.0, v37, 1.0
	s_delay_alu instid0(VALU_DEP_1) | instskip(NEXT) | instid1(VALU_DEP_1)
	v_mul_f32_e32 v42, v40, v39
	v_fma_f32 v43, -v38, v42, v40
	s_delay_alu instid0(VALU_DEP_1) | instskip(NEXT) | instid1(VALU_DEP_1)
	v_fmac_f32_e32 v42, v43, v39
	v_fma_f32 v38, -v38, v42, v40
	s_delay_alu instid0(VALU_DEP_1) | instskip(NEXT) | instid1(VALU_DEP_1)
	v_div_fmas_f32 v38, v38, v39, v42
	v_div_fixup_f32 v37, v38, v37, 1.0
.LBB11_9:
	s_or_b32 exec_lo, exec_lo, s2
	s_delay_alu instid0(SALU_CYCLE_1)
	s_mov_b32 s2, exec_lo
	v_cmpx_o_f16_e32 v30, v30
	s_cbranch_execz .LBB11_11
; %bb.10:
	v_cvt_f32_f16_e64 v29, -v30
	s_mov_b32 s3, 0x3fb8aa3b
	s_delay_alu instid0(VALU_DEP_1) | instskip(SKIP_1) | instid1(VALU_DEP_2)
	v_mul_f32_e32 v38, 0x3fb8aa3b, v29
	v_cmp_ngt_f32_e32 vcc_lo, 0xc2ce8ed0, v29
	v_rndne_f32_e32 v39, v38
	v_fma_mix_f32 v40, -v30, s3, -v38 op_sel_hi:[1,0,0]
	s_mov_b32 s3, 0x32a5705f
	s_delay_alu instid0(VALU_DEP_2) | instskip(NEXT) | instid1(VALU_DEP_2)
	v_sub_f32_e32 v38, v38, v39
	v_fma_mix_f32 v40, -v30, s3, v40 op_sel_hi:[1,0,0]
	v_cvt_i32_f32_e32 v39, v39
	s_delay_alu instid0(VALU_DEP_2) | instskip(NEXT) | instid1(VALU_DEP_1)
	v_add_f32_e32 v38, v38, v40
	v_exp_f32_e32 v38, v38
	s_waitcnt_depctr 0xfff
	v_ldexp_f32 v38, v38, v39
	s_delay_alu instid0(VALU_DEP_1) | instskip(SKIP_1) | instid1(VALU_DEP_2)
	v_cndmask_b32_e32 v38, 0, v38, vcc_lo
	v_cmp_nlt_f32_e32 vcc_lo, 0x42b17218, v29
	v_cndmask_b32_e32 v29, 0x7f800000, v38, vcc_lo
	s_delay_alu instid0(VALU_DEP_1) | instskip(NEXT) | instid1(VALU_DEP_1)
	v_add_f32_e32 v29, 1.0, v29
	v_div_scale_f32 v38, null, v29, v29, 1.0
	s_delay_alu instid0(VALU_DEP_1) | instskip(SKIP_2) | instid1(VALU_DEP_1)
	v_rcp_f32_e32 v39, v38
	s_waitcnt_depctr 0xfff
	v_fma_f32 v40, -v38, v39, 1.0
	v_fmac_f32_e32 v39, v40, v39
	v_div_scale_f32 v40, vcc_lo, 1.0, v29, 1.0
	s_delay_alu instid0(VALU_DEP_1) | instskip(NEXT) | instid1(VALU_DEP_1)
	v_mul_f32_e32 v42, v40, v39
	v_fma_f32 v43, -v38, v42, v40
	s_delay_alu instid0(VALU_DEP_1) | instskip(NEXT) | instid1(VALU_DEP_1)
	v_fmac_f32_e32 v42, v43, v39
	v_fma_f32 v38, -v38, v42, v40
	s_delay_alu instid0(VALU_DEP_1) | instskip(NEXT) | instid1(VALU_DEP_1)
	v_div_fmas_f32 v38, v38, v39, v42
	v_div_fixup_f32 v29, v38, v29, 1.0
.LBB11_11:
	s_or_b32 exec_lo, exec_lo, s2
	v_lshrrev_b32_e32 v39, 16, v30
	v_mov_b32_e32 v30, 0
	v_mov_b32_e32 v38, 0
	s_mov_b32 s2, exec_lo
	s_delay_alu instid0(VALU_DEP_3)
	v_cmpx_o_f16_e32 v39, v39
	s_cbranch_execz .LBB11_13
; %bb.12:
	v_cvt_f32_f16_e64 v38, -v39
	s_mov_b32 s3, 0x3fb8aa3b
	s_delay_alu instid0(VALU_DEP_1) | instskip(SKIP_1) | instid1(VALU_DEP_1)
	v_cmp_ngt_f32_e32 vcc_lo, 0xc2ce8ed0, v38
	v_mul_f32_e32 v40, 0x3fb8aa3b, v38
	v_rndne_f32_e32 v42, v40
	v_fma_mix_f32 v43, -v39, s3, -v40 op_sel_hi:[1,0,0]
	s_mov_b32 s3, 0x32a5705f
	s_delay_alu instid0(VALU_DEP_2) | instskip(NEXT) | instid1(VALU_DEP_2)
	v_sub_f32_e32 v40, v40, v42
	v_fma_mix_f32 v39, -v39, s3, v43 op_sel_hi:[1,0,0]
	s_delay_alu instid0(VALU_DEP_1) | instskip(SKIP_1) | instid1(VALU_DEP_2)
	v_add_f32_e32 v39, v40, v39
	v_cvt_i32_f32_e32 v40, v42
	v_exp_f32_e32 v39, v39
	s_waitcnt_depctr 0xfff
	v_ldexp_f32 v39, v39, v40
	s_delay_alu instid0(VALU_DEP_1) | instskip(SKIP_1) | instid1(VALU_DEP_2)
	v_cndmask_b32_e32 v39, 0, v39, vcc_lo
	v_cmp_nlt_f32_e32 vcc_lo, 0x42b17218, v38
	v_cndmask_b32_e32 v38, 0x7f800000, v39, vcc_lo
	s_delay_alu instid0(VALU_DEP_1) | instskip(NEXT) | instid1(VALU_DEP_1)
	v_add_f32_e32 v38, 1.0, v38
	v_div_scale_f32 v39, null, v38, v38, 1.0
	s_delay_alu instid0(VALU_DEP_1) | instskip(SKIP_2) | instid1(VALU_DEP_1)
	v_rcp_f32_e32 v40, v39
	s_waitcnt_depctr 0xfff
	v_fma_f32 v42, -v39, v40, 1.0
	v_fmac_f32_e32 v40, v42, v40
	v_div_scale_f32 v42, vcc_lo, 1.0, v38, 1.0
	s_delay_alu instid0(VALU_DEP_1) | instskip(NEXT) | instid1(VALU_DEP_1)
	v_mul_f32_e32 v43, v42, v40
	v_fma_f32 v44, -v39, v43, v42
	s_delay_alu instid0(VALU_DEP_1) | instskip(NEXT) | instid1(VALU_DEP_1)
	v_fmac_f32_e32 v43, v44, v40
	v_fma_f32 v39, -v39, v43, v42
	s_delay_alu instid0(VALU_DEP_1) | instskip(NEXT) | instid1(VALU_DEP_1)
	v_div_fmas_f32 v39, v39, v40, v43
	v_div_fixup_f32 v38, v39, v38, 1.0
.LBB11_13:
	s_or_b32 exec_lo, exec_lo, s2
	s_delay_alu instid0(SALU_CYCLE_1)
	s_mov_b32 s2, exec_lo
	v_cmpx_o_f16_e32 v31, v31
	s_cbranch_execz .LBB11_15
; %bb.14:
	v_cvt_f32_f16_e64 v30, -v31
	s_mov_b32 s3, 0x3fb8aa3b
	s_delay_alu instid0(VALU_DEP_1) | instskip(SKIP_1) | instid1(VALU_DEP_2)
	v_mul_f32_e32 v39, 0x3fb8aa3b, v30
	v_cmp_ngt_f32_e32 vcc_lo, 0xc2ce8ed0, v30
	v_rndne_f32_e32 v40, v39
	v_fma_mix_f32 v42, -v31, s3, -v39 op_sel_hi:[1,0,0]
	s_mov_b32 s3, 0x32a5705f
	s_delay_alu instid0(VALU_DEP_2) | instskip(NEXT) | instid1(VALU_DEP_2)
	v_sub_f32_e32 v39, v39, v40
	v_fma_mix_f32 v42, -v31, s3, v42 op_sel_hi:[1,0,0]
	v_cvt_i32_f32_e32 v40, v40
	s_delay_alu instid0(VALU_DEP_2) | instskip(NEXT) | instid1(VALU_DEP_1)
	v_add_f32_e32 v39, v39, v42
	v_exp_f32_e32 v39, v39
	s_waitcnt_depctr 0xfff
	v_ldexp_f32 v39, v39, v40
	s_delay_alu instid0(VALU_DEP_1) | instskip(SKIP_1) | instid1(VALU_DEP_2)
	v_cndmask_b32_e32 v39, 0, v39, vcc_lo
	v_cmp_nlt_f32_e32 vcc_lo, 0x42b17218, v30
	v_cndmask_b32_e32 v30, 0x7f800000, v39, vcc_lo
	s_delay_alu instid0(VALU_DEP_1) | instskip(NEXT) | instid1(VALU_DEP_1)
	v_add_f32_e32 v30, 1.0, v30
	v_div_scale_f32 v39, null, v30, v30, 1.0
	s_delay_alu instid0(VALU_DEP_1) | instskip(SKIP_2) | instid1(VALU_DEP_1)
	v_rcp_f32_e32 v40, v39
	s_waitcnt_depctr 0xfff
	v_fma_f32 v42, -v39, v40, 1.0
	v_fmac_f32_e32 v40, v42, v40
	v_div_scale_f32 v42, vcc_lo, 1.0, v30, 1.0
	s_delay_alu instid0(VALU_DEP_1) | instskip(NEXT) | instid1(VALU_DEP_1)
	v_mul_f32_e32 v43, v42, v40
	v_fma_f32 v44, -v39, v43, v42
	s_delay_alu instid0(VALU_DEP_1) | instskip(NEXT) | instid1(VALU_DEP_1)
	v_fmac_f32_e32 v43, v44, v40
	v_fma_f32 v39, -v39, v43, v42
	s_delay_alu instid0(VALU_DEP_1) | instskip(NEXT) | instid1(VALU_DEP_1)
	v_div_fmas_f32 v39, v39, v40, v43
	v_div_fixup_f32 v30, v39, v30, 1.0
.LBB11_15:
	s_or_b32 exec_lo, exec_lo, s2
	v_lshrrev_b32_e32 v40, 16, v31
	v_mov_b32_e32 v31, 0
	v_mov_b32_e32 v39, 0
	s_mov_b32 s2, exec_lo
	s_delay_alu instid0(VALU_DEP_3)
	v_cmpx_o_f16_e32 v40, v40
	s_cbranch_execz .LBB11_17
; %bb.16:
	v_cvt_f32_f16_e64 v39, -v40
	s_mov_b32 s3, 0x3fb8aa3b
	s_delay_alu instid0(VALU_DEP_1) | instskip(SKIP_1) | instid1(VALU_DEP_2)
	v_mul_f32_e32 v42, 0x3fb8aa3b, v39
	v_cmp_ngt_f32_e32 vcc_lo, 0xc2ce8ed0, v39
	v_rndne_f32_e32 v43, v42
	v_fma_mix_f32 v44, -v40, s3, -v42 op_sel_hi:[1,0,0]
	s_mov_b32 s3, 0x32a5705f
	s_delay_alu instid0(VALU_DEP_2) | instskip(NEXT) | instid1(VALU_DEP_2)
	v_sub_f32_e32 v42, v42, v43
	v_fma_mix_f32 v40, -v40, s3, v44 op_sel_hi:[1,0,0]
	s_delay_alu instid0(VALU_DEP_1) | instskip(SKIP_1) | instid1(VALU_DEP_2)
	v_add_f32_e32 v40, v42, v40
	v_cvt_i32_f32_e32 v42, v43
	v_exp_f32_e32 v40, v40
	s_waitcnt_depctr 0xfff
	v_ldexp_f32 v40, v40, v42
	s_delay_alu instid0(VALU_DEP_1) | instskip(SKIP_1) | instid1(VALU_DEP_2)
	v_cndmask_b32_e32 v40, 0, v40, vcc_lo
	v_cmp_nlt_f32_e32 vcc_lo, 0x42b17218, v39
	v_cndmask_b32_e32 v39, 0x7f800000, v40, vcc_lo
	s_delay_alu instid0(VALU_DEP_1) | instskip(NEXT) | instid1(VALU_DEP_1)
	v_add_f32_e32 v39, 1.0, v39
	v_div_scale_f32 v40, null, v39, v39, 1.0
	s_delay_alu instid0(VALU_DEP_1) | instskip(SKIP_2) | instid1(VALU_DEP_1)
	v_rcp_f32_e32 v42, v40
	s_waitcnt_depctr 0xfff
	v_fma_f32 v43, -v40, v42, 1.0
	v_fmac_f32_e32 v42, v43, v42
	v_div_scale_f32 v43, vcc_lo, 1.0, v39, 1.0
	s_delay_alu instid0(VALU_DEP_1) | instskip(NEXT) | instid1(VALU_DEP_1)
	v_mul_f32_e32 v44, v43, v42
	v_fma_f32 v45, -v40, v44, v43
	s_delay_alu instid0(VALU_DEP_1) | instskip(NEXT) | instid1(VALU_DEP_1)
	v_fmac_f32_e32 v44, v45, v42
	v_fma_f32 v40, -v40, v44, v43
	s_delay_alu instid0(VALU_DEP_1) | instskip(NEXT) | instid1(VALU_DEP_1)
	v_div_fmas_f32 v40, v40, v42, v44
	v_div_fixup_f32 v39, v40, v39, 1.0
.LBB11_17:
	s_or_b32 exec_lo, exec_lo, s2
	s_delay_alu instid0(SALU_CYCLE_1)
	s_mov_b32 s2, exec_lo
	v_cmpx_o_f16_e32 v24, v24
	s_cbranch_execz .LBB11_19
; %bb.18:
	v_cvt_f32_f16_e64 v31, -v24
	s_mov_b32 s3, 0x3fb8aa3b
	s_delay_alu instid0(VALU_DEP_1) | instskip(SKIP_1) | instid1(VALU_DEP_2)
	v_mul_f32_e32 v40, 0x3fb8aa3b, v31
	v_cmp_ngt_f32_e32 vcc_lo, 0xc2ce8ed0, v31
	v_rndne_f32_e32 v42, v40
	v_fma_mix_f32 v43, -v24, s3, -v40 op_sel_hi:[1,0,0]
	s_mov_b32 s3, 0x32a5705f
	s_delay_alu instid0(VALU_DEP_2) | instskip(NEXT) | instid1(VALU_DEP_2)
	v_sub_f32_e32 v40, v40, v42
	v_fma_mix_f32 v43, -v24, s3, v43 op_sel_hi:[1,0,0]
	v_cvt_i32_f32_e32 v42, v42
	s_delay_alu instid0(VALU_DEP_2) | instskip(NEXT) | instid1(VALU_DEP_1)
	v_add_f32_e32 v40, v40, v43
	v_exp_f32_e32 v40, v40
	s_waitcnt_depctr 0xfff
	v_ldexp_f32 v40, v40, v42
	s_delay_alu instid0(VALU_DEP_1) | instskip(SKIP_1) | instid1(VALU_DEP_2)
	v_cndmask_b32_e32 v40, 0, v40, vcc_lo
	v_cmp_nlt_f32_e32 vcc_lo, 0x42b17218, v31
	v_cndmask_b32_e32 v31, 0x7f800000, v40, vcc_lo
	s_delay_alu instid0(VALU_DEP_1) | instskip(NEXT) | instid1(VALU_DEP_1)
	v_add_f32_e32 v31, 1.0, v31
	v_div_scale_f32 v40, null, v31, v31, 1.0
	s_delay_alu instid0(VALU_DEP_1) | instskip(SKIP_2) | instid1(VALU_DEP_1)
	v_rcp_f32_e32 v42, v40
	s_waitcnt_depctr 0xfff
	v_fma_f32 v43, -v40, v42, 1.0
	v_fmac_f32_e32 v42, v43, v42
	v_div_scale_f32 v43, vcc_lo, 1.0, v31, 1.0
	s_delay_alu instid0(VALU_DEP_1) | instskip(NEXT) | instid1(VALU_DEP_1)
	v_mul_f32_e32 v44, v43, v42
	v_fma_f32 v45, -v40, v44, v43
	s_delay_alu instid0(VALU_DEP_1) | instskip(NEXT) | instid1(VALU_DEP_1)
	v_fmac_f32_e32 v44, v45, v42
	v_fma_f32 v40, -v40, v44, v43
	s_delay_alu instid0(VALU_DEP_1) | instskip(NEXT) | instid1(VALU_DEP_1)
	v_div_fmas_f32 v40, v40, v42, v44
	v_div_fixup_f32 v31, v40, v31, 1.0
.LBB11_19:
	s_or_b32 exec_lo, exec_lo, s2
	v_lshrrev_b32_e32 v42, 16, v24
	v_mov_b32_e32 v24, 0
	v_mov_b32_e32 v40, 0
	s_mov_b32 s2, exec_lo
	s_delay_alu instid0(VALU_DEP_3)
	v_cmpx_o_f16_e32 v42, v42
	s_cbranch_execz .LBB11_21
; %bb.20:
	v_cvt_f32_f16_e64 v40, -v42
	s_mov_b32 s3, 0x3fb8aa3b
	s_delay_alu instid0(VALU_DEP_1) | instskip(SKIP_1) | instid1(VALU_DEP_1)
	v_cmp_ngt_f32_e32 vcc_lo, 0xc2ce8ed0, v40
	v_mul_f32_e32 v43, 0x3fb8aa3b, v40
	v_rndne_f32_e32 v44, v43
	v_fma_mix_f32 v45, -v42, s3, -v43 op_sel_hi:[1,0,0]
	s_mov_b32 s3, 0x32a5705f
	s_delay_alu instid0(VALU_DEP_2) | instskip(NEXT) | instid1(VALU_DEP_2)
	v_sub_f32_e32 v43, v43, v44
	v_fma_mix_f32 v42, -v42, s3, v45 op_sel_hi:[1,0,0]
	s_delay_alu instid0(VALU_DEP_1) | instskip(SKIP_1) | instid1(VALU_DEP_2)
	v_add_f32_e32 v42, v43, v42
	v_cvt_i32_f32_e32 v43, v44
	v_exp_f32_e32 v42, v42
	s_waitcnt_depctr 0xfff
	v_ldexp_f32 v42, v42, v43
	s_delay_alu instid0(VALU_DEP_1) | instskip(SKIP_1) | instid1(VALU_DEP_2)
	v_cndmask_b32_e32 v42, 0, v42, vcc_lo
	v_cmp_nlt_f32_e32 vcc_lo, 0x42b17218, v40
	v_cndmask_b32_e32 v40, 0x7f800000, v42, vcc_lo
	s_delay_alu instid0(VALU_DEP_1) | instskip(NEXT) | instid1(VALU_DEP_1)
	v_add_f32_e32 v40, 1.0, v40
	v_div_scale_f32 v42, null, v40, v40, 1.0
	s_delay_alu instid0(VALU_DEP_1) | instskip(SKIP_2) | instid1(VALU_DEP_1)
	v_rcp_f32_e32 v43, v42
	s_waitcnt_depctr 0xfff
	v_fma_f32 v44, -v42, v43, 1.0
	v_fmac_f32_e32 v43, v44, v43
	v_div_scale_f32 v44, vcc_lo, 1.0, v40, 1.0
	s_delay_alu instid0(VALU_DEP_1) | instskip(NEXT) | instid1(VALU_DEP_1)
	v_mul_f32_e32 v45, v44, v43
	v_fma_f32 v46, -v42, v45, v44
	s_delay_alu instid0(VALU_DEP_1) | instskip(NEXT) | instid1(VALU_DEP_1)
	v_fmac_f32_e32 v45, v46, v43
	v_fma_f32 v42, -v42, v45, v44
	s_delay_alu instid0(VALU_DEP_1) | instskip(NEXT) | instid1(VALU_DEP_1)
	v_div_fmas_f32 v42, v42, v43, v45
	v_div_fixup_f32 v40, v42, v40, 1.0
.LBB11_21:
	s_or_b32 exec_lo, exec_lo, s2
	s_delay_alu instid0(SALU_CYCLE_1)
	s_mov_b32 s2, exec_lo
	v_cmpx_o_f16_e32 v25, v25
	s_cbranch_execz .LBB11_23
; %bb.22:
	v_cvt_f32_f16_e64 v24, -v25
	s_mov_b32 s3, 0x3fb8aa3b
	s_delay_alu instid0(VALU_DEP_1) | instskip(SKIP_1) | instid1(VALU_DEP_2)
	v_mul_f32_e32 v42, 0x3fb8aa3b, v24
	v_cmp_ngt_f32_e32 vcc_lo, 0xc2ce8ed0, v24
	v_rndne_f32_e32 v43, v42
	v_fma_mix_f32 v44, -v25, s3, -v42 op_sel_hi:[1,0,0]
	s_mov_b32 s3, 0x32a5705f
	s_delay_alu instid0(VALU_DEP_2) | instskip(NEXT) | instid1(VALU_DEP_2)
	v_sub_f32_e32 v42, v42, v43
	v_fma_mix_f32 v44, -v25, s3, v44 op_sel_hi:[1,0,0]
	v_cvt_i32_f32_e32 v43, v43
	s_delay_alu instid0(VALU_DEP_2) | instskip(NEXT) | instid1(VALU_DEP_1)
	v_add_f32_e32 v42, v42, v44
	v_exp_f32_e32 v42, v42
	s_waitcnt_depctr 0xfff
	v_ldexp_f32 v42, v42, v43
	s_delay_alu instid0(VALU_DEP_1) | instskip(SKIP_1) | instid1(VALU_DEP_2)
	v_cndmask_b32_e32 v42, 0, v42, vcc_lo
	v_cmp_nlt_f32_e32 vcc_lo, 0x42b17218, v24
	v_cndmask_b32_e32 v24, 0x7f800000, v42, vcc_lo
	s_delay_alu instid0(VALU_DEP_1) | instskip(NEXT) | instid1(VALU_DEP_1)
	v_add_f32_e32 v24, 1.0, v24
	v_div_scale_f32 v42, null, v24, v24, 1.0
	s_delay_alu instid0(VALU_DEP_1) | instskip(SKIP_2) | instid1(VALU_DEP_1)
	v_rcp_f32_e32 v43, v42
	s_waitcnt_depctr 0xfff
	v_fma_f32 v44, -v42, v43, 1.0
	v_fmac_f32_e32 v43, v44, v43
	v_div_scale_f32 v44, vcc_lo, 1.0, v24, 1.0
	s_delay_alu instid0(VALU_DEP_1) | instskip(NEXT) | instid1(VALU_DEP_1)
	v_mul_f32_e32 v45, v44, v43
	v_fma_f32 v46, -v42, v45, v44
	s_delay_alu instid0(VALU_DEP_1) | instskip(NEXT) | instid1(VALU_DEP_1)
	v_fmac_f32_e32 v45, v46, v43
	v_fma_f32 v42, -v42, v45, v44
	s_delay_alu instid0(VALU_DEP_1) | instskip(NEXT) | instid1(VALU_DEP_1)
	v_div_fmas_f32 v42, v42, v43, v45
	v_div_fixup_f32 v24, v42, v24, 1.0
.LBB11_23:
	s_or_b32 exec_lo, exec_lo, s2
	v_lshrrev_b32_e32 v43, 16, v25
	v_dual_mov_b32 v25, 0 :: v_dual_mov_b32 v42, 0
	s_mov_b32 s2, exec_lo
	s_delay_alu instid0(VALU_DEP_2)
	v_cmpx_o_f16_e32 v43, v43
	s_cbranch_execz .LBB11_25
; %bb.24:
	v_cvt_f32_f16_e64 v42, -v43
	s_mov_b32 s3, 0x3fb8aa3b
	s_delay_alu instid0(VALU_DEP_1) | instskip(SKIP_1) | instid1(VALU_DEP_1)
	v_cmp_ngt_f32_e32 vcc_lo, 0xc2ce8ed0, v42
	v_mul_f32_e32 v44, 0x3fb8aa3b, v42
	v_rndne_f32_e32 v45, v44
	v_fma_mix_f32 v46, -v43, s3, -v44 op_sel_hi:[1,0,0]
	s_mov_b32 s3, 0x32a5705f
	s_delay_alu instid0(VALU_DEP_2) | instskip(NEXT) | instid1(VALU_DEP_2)
	v_sub_f32_e32 v44, v44, v45
	v_fma_mix_f32 v43, -v43, s3, v46 op_sel_hi:[1,0,0]
	s_delay_alu instid0(VALU_DEP_1) | instskip(SKIP_1) | instid1(VALU_DEP_2)
	v_add_f32_e32 v43, v44, v43
	v_cvt_i32_f32_e32 v44, v45
	v_exp_f32_e32 v43, v43
	s_waitcnt_depctr 0xfff
	v_ldexp_f32 v43, v43, v44
	s_delay_alu instid0(VALU_DEP_1) | instskip(SKIP_1) | instid1(VALU_DEP_2)
	v_cndmask_b32_e32 v43, 0, v43, vcc_lo
	v_cmp_nlt_f32_e32 vcc_lo, 0x42b17218, v42
	v_cndmask_b32_e32 v42, 0x7f800000, v43, vcc_lo
	s_delay_alu instid0(VALU_DEP_1) | instskip(NEXT) | instid1(VALU_DEP_1)
	v_add_f32_e32 v42, 1.0, v42
	v_div_scale_f32 v43, null, v42, v42, 1.0
	s_delay_alu instid0(VALU_DEP_1) | instskip(SKIP_2) | instid1(VALU_DEP_1)
	v_rcp_f32_e32 v44, v43
	s_waitcnt_depctr 0xfff
	v_fma_f32 v45, -v43, v44, 1.0
	v_fmac_f32_e32 v44, v45, v44
	v_div_scale_f32 v45, vcc_lo, 1.0, v42, 1.0
	s_delay_alu instid0(VALU_DEP_1) | instskip(NEXT) | instid1(VALU_DEP_1)
	v_mul_f32_e32 v46, v45, v44
	v_fma_f32 v47, -v43, v46, v45
	s_delay_alu instid0(VALU_DEP_1) | instskip(NEXT) | instid1(VALU_DEP_1)
	v_fmac_f32_e32 v46, v47, v44
	v_fma_f32 v43, -v43, v46, v45
	s_delay_alu instid0(VALU_DEP_1) | instskip(NEXT) | instid1(VALU_DEP_1)
	v_div_fmas_f32 v43, v43, v44, v46
	v_div_fixup_f32 v42, v43, v42, 1.0
.LBB11_25:
	s_or_b32 exec_lo, exec_lo, s2
	s_delay_alu instid0(SALU_CYCLE_1)
	s_mov_b32 s2, exec_lo
	v_cmpx_o_f16_e32 v26, v26
	s_cbranch_execz .LBB11_27
; %bb.26:
	v_cvt_f32_f16_e64 v25, -v26
	s_mov_b32 s3, 0x3fb8aa3b
	s_delay_alu instid0(VALU_DEP_1) | instskip(SKIP_1) | instid1(VALU_DEP_2)
	v_mul_f32_e32 v43, 0x3fb8aa3b, v25
	v_cmp_ngt_f32_e32 vcc_lo, 0xc2ce8ed0, v25
	v_rndne_f32_e32 v44, v43
	v_fma_mix_f32 v45, -v26, s3, -v43 op_sel_hi:[1,0,0]
	s_mov_b32 s3, 0x32a5705f
	s_delay_alu instid0(VALU_DEP_2) | instskip(NEXT) | instid1(VALU_DEP_2)
	v_sub_f32_e32 v43, v43, v44
	v_fma_mix_f32 v45, -v26, s3, v45 op_sel_hi:[1,0,0]
	v_cvt_i32_f32_e32 v44, v44
	s_delay_alu instid0(VALU_DEP_2) | instskip(NEXT) | instid1(VALU_DEP_1)
	v_add_f32_e32 v43, v43, v45
	v_exp_f32_e32 v43, v43
	s_waitcnt_depctr 0xfff
	v_ldexp_f32 v43, v43, v44
	s_delay_alu instid0(VALU_DEP_1) | instskip(SKIP_1) | instid1(VALU_DEP_2)
	v_cndmask_b32_e32 v43, 0, v43, vcc_lo
	v_cmp_nlt_f32_e32 vcc_lo, 0x42b17218, v25
	v_cndmask_b32_e32 v25, 0x7f800000, v43, vcc_lo
	s_delay_alu instid0(VALU_DEP_1) | instskip(NEXT) | instid1(VALU_DEP_1)
	v_add_f32_e32 v25, 1.0, v25
	v_div_scale_f32 v43, null, v25, v25, 1.0
	s_delay_alu instid0(VALU_DEP_1) | instskip(SKIP_2) | instid1(VALU_DEP_1)
	v_rcp_f32_e32 v44, v43
	s_waitcnt_depctr 0xfff
	v_fma_f32 v45, -v43, v44, 1.0
	v_fmac_f32_e32 v44, v45, v44
	v_div_scale_f32 v45, vcc_lo, 1.0, v25, 1.0
	s_delay_alu instid0(VALU_DEP_1) | instskip(NEXT) | instid1(VALU_DEP_1)
	v_mul_f32_e32 v46, v45, v44
	v_fma_f32 v47, -v43, v46, v45
	s_delay_alu instid0(VALU_DEP_1) | instskip(NEXT) | instid1(VALU_DEP_1)
	v_fmac_f32_e32 v46, v47, v44
	v_fma_f32 v43, -v43, v46, v45
	s_delay_alu instid0(VALU_DEP_1) | instskip(NEXT) | instid1(VALU_DEP_1)
	v_div_fmas_f32 v43, v43, v44, v46
	v_div_fixup_f32 v25, v43, v25, 1.0
.LBB11_27:
	s_or_b32 exec_lo, exec_lo, s2
	v_lshrrev_b32_e32 v44, 16, v26
	v_dual_mov_b32 v26, 0 :: v_dual_mov_b32 v43, 0
	s_mov_b32 s2, exec_lo
	s_delay_alu instid0(VALU_DEP_2)
	v_cmpx_o_f16_e32 v44, v44
	s_cbranch_execz .LBB11_29
; %bb.28:
	v_cvt_f32_f16_e64 v43, -v44
	s_mov_b32 s3, 0x3fb8aa3b
	s_delay_alu instid0(VALU_DEP_1) | instskip(SKIP_1) | instid1(VALU_DEP_1)
	v_cmp_ngt_f32_e32 vcc_lo, 0xc2ce8ed0, v43
	v_mul_f32_e32 v45, 0x3fb8aa3b, v43
	v_rndne_f32_e32 v46, v45
	v_fma_mix_f32 v47, -v44, s3, -v45 op_sel_hi:[1,0,0]
	s_mov_b32 s3, 0x32a5705f
	s_delay_alu instid0(VALU_DEP_2) | instskip(NEXT) | instid1(VALU_DEP_2)
	v_sub_f32_e32 v45, v45, v46
	v_fma_mix_f32 v44, -v44, s3, v47 op_sel_hi:[1,0,0]
	s_delay_alu instid0(VALU_DEP_1) | instskip(SKIP_1) | instid1(VALU_DEP_2)
	v_add_f32_e32 v44, v45, v44
	v_cvt_i32_f32_e32 v45, v46
	v_exp_f32_e32 v44, v44
	s_waitcnt_depctr 0xfff
	v_ldexp_f32 v44, v44, v45
	s_delay_alu instid0(VALU_DEP_1) | instskip(SKIP_1) | instid1(VALU_DEP_2)
	v_cndmask_b32_e32 v44, 0, v44, vcc_lo
	v_cmp_nlt_f32_e32 vcc_lo, 0x42b17218, v43
	v_cndmask_b32_e32 v43, 0x7f800000, v44, vcc_lo
	s_delay_alu instid0(VALU_DEP_1) | instskip(NEXT) | instid1(VALU_DEP_1)
	v_add_f32_e32 v43, 1.0, v43
	v_div_scale_f32 v44, null, v43, v43, 1.0
	s_delay_alu instid0(VALU_DEP_1) | instskip(SKIP_2) | instid1(VALU_DEP_1)
	v_rcp_f32_e32 v45, v44
	s_waitcnt_depctr 0xfff
	v_fma_f32 v46, -v44, v45, 1.0
	v_fmac_f32_e32 v45, v46, v45
	v_div_scale_f32 v46, vcc_lo, 1.0, v43, 1.0
	s_delay_alu instid0(VALU_DEP_1) | instskip(NEXT) | instid1(VALU_DEP_1)
	v_mul_f32_e32 v47, v46, v45
	v_fma_f32 v48, -v44, v47, v46
	s_delay_alu instid0(VALU_DEP_1) | instskip(NEXT) | instid1(VALU_DEP_1)
	v_fmac_f32_e32 v47, v48, v45
	v_fma_f32 v44, -v44, v47, v46
	s_delay_alu instid0(VALU_DEP_1) | instskip(NEXT) | instid1(VALU_DEP_1)
	v_div_fmas_f32 v44, v44, v45, v47
	v_div_fixup_f32 v43, v44, v43, 1.0
.LBB11_29:
	s_or_b32 exec_lo, exec_lo, s2
	s_delay_alu instid0(SALU_CYCLE_1)
	s_mov_b32 s2, exec_lo
	v_cmpx_o_f16_e32 v27, v27
	s_cbranch_execz .LBB11_31
; %bb.30:
	v_cvt_f32_f16_e64 v26, -v27
	s_mov_b32 s3, 0x3fb8aa3b
	s_delay_alu instid0(VALU_DEP_1) | instskip(SKIP_1) | instid1(VALU_DEP_2)
	v_mul_f32_e32 v44, 0x3fb8aa3b, v26
	v_cmp_ngt_f32_e32 vcc_lo, 0xc2ce8ed0, v26
	v_rndne_f32_e32 v45, v44
	v_fma_mix_f32 v46, -v27, s3, -v44 op_sel_hi:[1,0,0]
	s_mov_b32 s3, 0x32a5705f
	s_delay_alu instid0(VALU_DEP_2) | instskip(NEXT) | instid1(VALU_DEP_2)
	v_sub_f32_e32 v44, v44, v45
	v_fma_mix_f32 v46, -v27, s3, v46 op_sel_hi:[1,0,0]
	v_cvt_i32_f32_e32 v45, v45
	s_delay_alu instid0(VALU_DEP_2) | instskip(NEXT) | instid1(VALU_DEP_1)
	v_add_f32_e32 v44, v44, v46
	v_exp_f32_e32 v44, v44
	s_waitcnt_depctr 0xfff
	v_ldexp_f32 v44, v44, v45
	s_delay_alu instid0(VALU_DEP_1) | instskip(SKIP_1) | instid1(VALU_DEP_2)
	v_cndmask_b32_e32 v44, 0, v44, vcc_lo
	v_cmp_nlt_f32_e32 vcc_lo, 0x42b17218, v26
	v_cndmask_b32_e32 v26, 0x7f800000, v44, vcc_lo
	s_delay_alu instid0(VALU_DEP_1) | instskip(NEXT) | instid1(VALU_DEP_1)
	v_add_f32_e32 v26, 1.0, v26
	v_div_scale_f32 v44, null, v26, v26, 1.0
	s_delay_alu instid0(VALU_DEP_1) | instskip(SKIP_2) | instid1(VALU_DEP_1)
	v_rcp_f32_e32 v45, v44
	s_waitcnt_depctr 0xfff
	v_fma_f32 v46, -v44, v45, 1.0
	v_fmac_f32_e32 v45, v46, v45
	v_div_scale_f32 v46, vcc_lo, 1.0, v26, 1.0
	s_delay_alu instid0(VALU_DEP_1) | instskip(NEXT) | instid1(VALU_DEP_1)
	v_mul_f32_e32 v47, v46, v45
	v_fma_f32 v48, -v44, v47, v46
	s_delay_alu instid0(VALU_DEP_1) | instskip(NEXT) | instid1(VALU_DEP_1)
	v_fmac_f32_e32 v47, v48, v45
	v_fma_f32 v44, -v44, v47, v46
	s_delay_alu instid0(VALU_DEP_1) | instskip(NEXT) | instid1(VALU_DEP_1)
	v_div_fmas_f32 v44, v44, v45, v47
	v_div_fixup_f32 v26, v44, v26, 1.0
.LBB11_31:
	s_or_b32 exec_lo, exec_lo, s2
	v_lshrrev_b32_e32 v45, 16, v27
	v_dual_mov_b32 v27, 0 :: v_dual_mov_b32 v44, 0
	s_mov_b32 s2, exec_lo
	s_delay_alu instid0(VALU_DEP_2)
	v_cmpx_o_f16_e32 v45, v45
	s_cbranch_execz .LBB11_33
; %bb.32:
	v_cvt_f32_f16_e64 v44, -v45
	s_mov_b32 s3, 0x3fb8aa3b
	s_delay_alu instid0(VALU_DEP_1) | instskip(SKIP_1) | instid1(VALU_DEP_1)
	v_cmp_ngt_f32_e32 vcc_lo, 0xc2ce8ed0, v44
	v_mul_f32_e32 v46, 0x3fb8aa3b, v44
	v_rndne_f32_e32 v47, v46
	v_fma_mix_f32 v48, -v45, s3, -v46 op_sel_hi:[1,0,0]
	s_mov_b32 s3, 0x32a5705f
	s_delay_alu instid0(VALU_DEP_2) | instskip(NEXT) | instid1(VALU_DEP_2)
	v_sub_f32_e32 v46, v46, v47
	v_fma_mix_f32 v45, -v45, s3, v48 op_sel_hi:[1,0,0]
	s_delay_alu instid0(VALU_DEP_1) | instskip(SKIP_1) | instid1(VALU_DEP_2)
	v_add_f32_e32 v45, v46, v45
	v_cvt_i32_f32_e32 v46, v47
	v_exp_f32_e32 v45, v45
	s_waitcnt_depctr 0xfff
	v_ldexp_f32 v45, v45, v46
	s_delay_alu instid0(VALU_DEP_1) | instskip(SKIP_1) | instid1(VALU_DEP_2)
	v_cndmask_b32_e32 v45, 0, v45, vcc_lo
	v_cmp_nlt_f32_e32 vcc_lo, 0x42b17218, v44
	v_cndmask_b32_e32 v44, 0x7f800000, v45, vcc_lo
	s_delay_alu instid0(VALU_DEP_1) | instskip(NEXT) | instid1(VALU_DEP_1)
	v_add_f32_e32 v44, 1.0, v44
	v_div_scale_f32 v45, null, v44, v44, 1.0
	s_delay_alu instid0(VALU_DEP_1) | instskip(SKIP_2) | instid1(VALU_DEP_1)
	v_rcp_f32_e32 v46, v45
	s_waitcnt_depctr 0xfff
	v_fma_f32 v47, -v45, v46, 1.0
	v_fmac_f32_e32 v46, v47, v46
	v_div_scale_f32 v47, vcc_lo, 1.0, v44, 1.0
	s_delay_alu instid0(VALU_DEP_1) | instskip(NEXT) | instid1(VALU_DEP_1)
	v_mul_f32_e32 v48, v47, v46
	v_fma_f32 v49, -v45, v48, v47
	s_delay_alu instid0(VALU_DEP_1) | instskip(NEXT) | instid1(VALU_DEP_1)
	v_fmac_f32_e32 v48, v49, v46
	v_fma_f32 v45, -v45, v48, v47
	s_delay_alu instid0(VALU_DEP_1) | instskip(NEXT) | instid1(VALU_DEP_1)
	v_div_fmas_f32 v45, v45, v46, v48
	v_div_fixup_f32 v44, v45, v44, 1.0
.LBB11_33:
	s_or_b32 exec_lo, exec_lo, s2
	s_delay_alu instid0(SALU_CYCLE_1)
	s_mov_b32 s2, exec_lo
	s_waitcnt vmcnt(4)
	v_cmpx_o_f16_e32 v20, v20
	s_cbranch_execz .LBB11_35
; %bb.34:
	v_cvt_f32_f16_e64 v27, -v20
	s_mov_b32 s3, 0x3fb8aa3b
	s_delay_alu instid0(VALU_DEP_1) | instskip(SKIP_1) | instid1(VALU_DEP_2)
	v_mul_f32_e32 v45, 0x3fb8aa3b, v27
	v_cmp_ngt_f32_e32 vcc_lo, 0xc2ce8ed0, v27
	v_rndne_f32_e32 v46, v45
	v_fma_mix_f32 v47, -v20, s3, -v45 op_sel_hi:[1,0,0]
	s_mov_b32 s3, 0x32a5705f
	s_delay_alu instid0(VALU_DEP_2) | instskip(NEXT) | instid1(VALU_DEP_2)
	v_sub_f32_e32 v45, v45, v46
	v_fma_mix_f32 v47, -v20, s3, v47 op_sel_hi:[1,0,0]
	v_cvt_i32_f32_e32 v46, v46
	s_delay_alu instid0(VALU_DEP_2) | instskip(NEXT) | instid1(VALU_DEP_1)
	v_add_f32_e32 v45, v45, v47
	v_exp_f32_e32 v45, v45
	s_waitcnt_depctr 0xfff
	v_ldexp_f32 v45, v45, v46
	s_delay_alu instid0(VALU_DEP_1) | instskip(SKIP_1) | instid1(VALU_DEP_2)
	v_cndmask_b32_e32 v45, 0, v45, vcc_lo
	v_cmp_nlt_f32_e32 vcc_lo, 0x42b17218, v27
	v_cndmask_b32_e32 v27, 0x7f800000, v45, vcc_lo
	s_delay_alu instid0(VALU_DEP_1) | instskip(NEXT) | instid1(VALU_DEP_1)
	v_add_f32_e32 v27, 1.0, v27
	v_div_scale_f32 v45, null, v27, v27, 1.0
	s_delay_alu instid0(VALU_DEP_1) | instskip(SKIP_2) | instid1(VALU_DEP_1)
	v_rcp_f32_e32 v46, v45
	s_waitcnt_depctr 0xfff
	v_fma_f32 v47, -v45, v46, 1.0
	v_fmac_f32_e32 v46, v47, v46
	v_div_scale_f32 v47, vcc_lo, 1.0, v27, 1.0
	s_delay_alu instid0(VALU_DEP_1) | instskip(NEXT) | instid1(VALU_DEP_1)
	v_mul_f32_e32 v48, v47, v46
	v_fma_f32 v49, -v45, v48, v47
	s_delay_alu instid0(VALU_DEP_1) | instskip(NEXT) | instid1(VALU_DEP_1)
	v_fmac_f32_e32 v48, v49, v46
	v_fma_f32 v45, -v45, v48, v47
	s_delay_alu instid0(VALU_DEP_1) | instskip(NEXT) | instid1(VALU_DEP_1)
	v_div_fmas_f32 v45, v45, v46, v48
	v_div_fixup_f32 v27, v45, v27, 1.0
.LBB11_35:
	s_or_b32 exec_lo, exec_lo, s2
	v_lshrrev_b32_e32 v46, 16, v20
	v_dual_mov_b32 v20, 0 :: v_dual_mov_b32 v45, 0
	s_mov_b32 s2, exec_lo
	s_delay_alu instid0(VALU_DEP_2)
	v_cmpx_o_f16_e32 v46, v46
	s_cbranch_execz .LBB11_37
; %bb.36:
	v_cvt_f32_f16_e64 v45, -v46
	s_mov_b32 s3, 0x3fb8aa3b
	s_delay_alu instid0(VALU_DEP_1) | instskip(SKIP_1) | instid1(VALU_DEP_1)
	v_cmp_ngt_f32_e32 vcc_lo, 0xc2ce8ed0, v45
	v_mul_f32_e32 v47, 0x3fb8aa3b, v45
	v_rndne_f32_e32 v48, v47
	v_fma_mix_f32 v49, -v46, s3, -v47 op_sel_hi:[1,0,0]
	s_mov_b32 s3, 0x32a5705f
	s_delay_alu instid0(VALU_DEP_2) | instskip(NEXT) | instid1(VALU_DEP_2)
	v_sub_f32_e32 v47, v47, v48
	v_fma_mix_f32 v46, -v46, s3, v49 op_sel_hi:[1,0,0]
	s_delay_alu instid0(VALU_DEP_1) | instskip(SKIP_1) | instid1(VALU_DEP_2)
	v_add_f32_e32 v46, v47, v46
	v_cvt_i32_f32_e32 v47, v48
	v_exp_f32_e32 v46, v46
	s_waitcnt_depctr 0xfff
	v_ldexp_f32 v46, v46, v47
	s_delay_alu instid0(VALU_DEP_1) | instskip(SKIP_1) | instid1(VALU_DEP_2)
	v_cndmask_b32_e32 v46, 0, v46, vcc_lo
	v_cmp_nlt_f32_e32 vcc_lo, 0x42b17218, v45
	v_cndmask_b32_e32 v45, 0x7f800000, v46, vcc_lo
	s_delay_alu instid0(VALU_DEP_1) | instskip(NEXT) | instid1(VALU_DEP_1)
	v_add_f32_e32 v45, 1.0, v45
	v_div_scale_f32 v46, null, v45, v45, 1.0
	s_delay_alu instid0(VALU_DEP_1) | instskip(SKIP_2) | instid1(VALU_DEP_1)
	v_rcp_f32_e32 v47, v46
	s_waitcnt_depctr 0xfff
	v_fma_f32 v48, -v46, v47, 1.0
	v_fmac_f32_e32 v47, v48, v47
	v_div_scale_f32 v48, vcc_lo, 1.0, v45, 1.0
	s_delay_alu instid0(VALU_DEP_1) | instskip(NEXT) | instid1(VALU_DEP_1)
	v_mul_f32_e32 v49, v48, v47
	v_fma_f32 v50, -v46, v49, v48
	s_delay_alu instid0(VALU_DEP_1) | instskip(NEXT) | instid1(VALU_DEP_1)
	v_fmac_f32_e32 v49, v50, v47
	v_fma_f32 v46, -v46, v49, v48
	s_delay_alu instid0(VALU_DEP_1) | instskip(NEXT) | instid1(VALU_DEP_1)
	v_div_fmas_f32 v46, v46, v47, v49
	v_div_fixup_f32 v45, v46, v45, 1.0
.LBB11_37:
	s_or_b32 exec_lo, exec_lo, s2
	s_delay_alu instid0(SALU_CYCLE_1)
	s_mov_b32 s2, exec_lo
	v_cmpx_o_f16_e32 v21, v21
	s_cbranch_execz .LBB11_39
; %bb.38:
	v_cvt_f32_f16_e64 v20, -v21
	s_mov_b32 s3, 0x3fb8aa3b
	s_delay_alu instid0(VALU_DEP_1) | instskip(SKIP_1) | instid1(VALU_DEP_2)
	v_mul_f32_e32 v46, 0x3fb8aa3b, v20
	v_cmp_ngt_f32_e32 vcc_lo, 0xc2ce8ed0, v20
	v_rndne_f32_e32 v47, v46
	v_fma_mix_f32 v48, -v21, s3, -v46 op_sel_hi:[1,0,0]
	s_mov_b32 s3, 0x32a5705f
	s_delay_alu instid0(VALU_DEP_2) | instskip(NEXT) | instid1(VALU_DEP_2)
	v_sub_f32_e32 v46, v46, v47
	v_fma_mix_f32 v48, -v21, s3, v48 op_sel_hi:[1,0,0]
	v_cvt_i32_f32_e32 v47, v47
	s_delay_alu instid0(VALU_DEP_2) | instskip(NEXT) | instid1(VALU_DEP_1)
	v_add_f32_e32 v46, v46, v48
	v_exp_f32_e32 v46, v46
	s_waitcnt_depctr 0xfff
	v_ldexp_f32 v46, v46, v47
	s_delay_alu instid0(VALU_DEP_1) | instskip(SKIP_1) | instid1(VALU_DEP_2)
	v_cndmask_b32_e32 v46, 0, v46, vcc_lo
	v_cmp_nlt_f32_e32 vcc_lo, 0x42b17218, v20
	v_cndmask_b32_e32 v20, 0x7f800000, v46, vcc_lo
	s_delay_alu instid0(VALU_DEP_1) | instskip(NEXT) | instid1(VALU_DEP_1)
	v_add_f32_e32 v20, 1.0, v20
	v_div_scale_f32 v46, null, v20, v20, 1.0
	s_delay_alu instid0(VALU_DEP_1) | instskip(SKIP_2) | instid1(VALU_DEP_1)
	v_rcp_f32_e32 v47, v46
	s_waitcnt_depctr 0xfff
	v_fma_f32 v48, -v46, v47, 1.0
	v_fmac_f32_e32 v47, v48, v47
	v_div_scale_f32 v48, vcc_lo, 1.0, v20, 1.0
	s_delay_alu instid0(VALU_DEP_1) | instskip(NEXT) | instid1(VALU_DEP_1)
	v_mul_f32_e32 v49, v48, v47
	v_fma_f32 v50, -v46, v49, v48
	s_delay_alu instid0(VALU_DEP_1) | instskip(NEXT) | instid1(VALU_DEP_1)
	v_fmac_f32_e32 v49, v50, v47
	v_fma_f32 v46, -v46, v49, v48
	s_delay_alu instid0(VALU_DEP_1) | instskip(NEXT) | instid1(VALU_DEP_1)
	v_div_fmas_f32 v46, v46, v47, v49
	v_div_fixup_f32 v20, v46, v20, 1.0
.LBB11_39:
	s_or_b32 exec_lo, exec_lo, s2
	v_lshrrev_b32_e32 v47, 16, v21
	v_dual_mov_b32 v21, 0 :: v_dual_mov_b32 v46, 0
	s_mov_b32 s2, exec_lo
	s_delay_alu instid0(VALU_DEP_2)
	v_cmpx_o_f16_e32 v47, v47
	s_cbranch_execz .LBB11_41
; %bb.40:
	v_cvt_f32_f16_e64 v46, -v47
	s_mov_b32 s3, 0x3fb8aa3b
	s_delay_alu instid0(VALU_DEP_1) | instskip(SKIP_1) | instid1(VALU_DEP_1)
	v_cmp_ngt_f32_e32 vcc_lo, 0xc2ce8ed0, v46
	v_mul_f32_e32 v48, 0x3fb8aa3b, v46
	v_rndne_f32_e32 v49, v48
	v_fma_mix_f32 v50, -v47, s3, -v48 op_sel_hi:[1,0,0]
	s_mov_b32 s3, 0x32a5705f
	s_delay_alu instid0(VALU_DEP_2) | instskip(NEXT) | instid1(VALU_DEP_2)
	v_sub_f32_e32 v48, v48, v49
	v_fma_mix_f32 v47, -v47, s3, v50 op_sel_hi:[1,0,0]
	s_delay_alu instid0(VALU_DEP_1) | instskip(SKIP_1) | instid1(VALU_DEP_2)
	v_add_f32_e32 v47, v48, v47
	v_cvt_i32_f32_e32 v48, v49
	v_exp_f32_e32 v47, v47
	s_waitcnt_depctr 0xfff
	v_ldexp_f32 v47, v47, v48
	s_delay_alu instid0(VALU_DEP_1) | instskip(SKIP_1) | instid1(VALU_DEP_2)
	v_cndmask_b32_e32 v47, 0, v47, vcc_lo
	v_cmp_nlt_f32_e32 vcc_lo, 0x42b17218, v46
	v_cndmask_b32_e32 v46, 0x7f800000, v47, vcc_lo
	s_delay_alu instid0(VALU_DEP_1) | instskip(NEXT) | instid1(VALU_DEP_1)
	v_add_f32_e32 v46, 1.0, v46
	v_div_scale_f32 v47, null, v46, v46, 1.0
	s_delay_alu instid0(VALU_DEP_1) | instskip(SKIP_2) | instid1(VALU_DEP_1)
	v_rcp_f32_e32 v48, v47
	s_waitcnt_depctr 0xfff
	v_fma_f32 v49, -v47, v48, 1.0
	v_fmac_f32_e32 v48, v49, v48
	v_div_scale_f32 v49, vcc_lo, 1.0, v46, 1.0
	s_delay_alu instid0(VALU_DEP_1) | instskip(NEXT) | instid1(VALU_DEP_1)
	v_mul_f32_e32 v50, v49, v48
	v_fma_f32 v51, -v47, v50, v49
	s_delay_alu instid0(VALU_DEP_1) | instskip(NEXT) | instid1(VALU_DEP_1)
	v_fmac_f32_e32 v50, v51, v48
	v_fma_f32 v47, -v47, v50, v49
	s_delay_alu instid0(VALU_DEP_1) | instskip(NEXT) | instid1(VALU_DEP_1)
	v_div_fmas_f32 v47, v47, v48, v50
	v_div_fixup_f32 v46, v47, v46, 1.0
.LBB11_41:
	s_or_b32 exec_lo, exec_lo, s2
	s_delay_alu instid0(SALU_CYCLE_1)
	s_mov_b32 s2, exec_lo
	v_cmpx_o_f16_e32 v22, v22
	s_cbranch_execz .LBB11_43
; %bb.42:
	v_cvt_f32_f16_e64 v21, -v22
	s_mov_b32 s3, 0x3fb8aa3b
	s_delay_alu instid0(VALU_DEP_1) | instskip(SKIP_1) | instid1(VALU_DEP_2)
	v_mul_f32_e32 v47, 0x3fb8aa3b, v21
	v_cmp_ngt_f32_e32 vcc_lo, 0xc2ce8ed0, v21
	v_rndne_f32_e32 v48, v47
	v_fma_mix_f32 v49, -v22, s3, -v47 op_sel_hi:[1,0,0]
	s_mov_b32 s3, 0x32a5705f
	s_delay_alu instid0(VALU_DEP_2) | instskip(NEXT) | instid1(VALU_DEP_2)
	v_sub_f32_e32 v47, v47, v48
	v_fma_mix_f32 v49, -v22, s3, v49 op_sel_hi:[1,0,0]
	v_cvt_i32_f32_e32 v48, v48
	s_delay_alu instid0(VALU_DEP_2) | instskip(NEXT) | instid1(VALU_DEP_1)
	v_add_f32_e32 v47, v47, v49
	v_exp_f32_e32 v47, v47
	s_waitcnt_depctr 0xfff
	v_ldexp_f32 v47, v47, v48
	s_delay_alu instid0(VALU_DEP_1) | instskip(SKIP_1) | instid1(VALU_DEP_2)
	v_cndmask_b32_e32 v47, 0, v47, vcc_lo
	v_cmp_nlt_f32_e32 vcc_lo, 0x42b17218, v21
	v_cndmask_b32_e32 v21, 0x7f800000, v47, vcc_lo
	s_delay_alu instid0(VALU_DEP_1) | instskip(NEXT) | instid1(VALU_DEP_1)
	v_add_f32_e32 v21, 1.0, v21
	v_div_scale_f32 v47, null, v21, v21, 1.0
	s_delay_alu instid0(VALU_DEP_1) | instskip(SKIP_2) | instid1(VALU_DEP_1)
	v_rcp_f32_e32 v48, v47
	s_waitcnt_depctr 0xfff
	v_fma_f32 v49, -v47, v48, 1.0
	v_fmac_f32_e32 v48, v49, v48
	v_div_scale_f32 v49, vcc_lo, 1.0, v21, 1.0
	s_delay_alu instid0(VALU_DEP_1) | instskip(NEXT) | instid1(VALU_DEP_1)
	v_mul_f32_e32 v50, v49, v48
	v_fma_f32 v51, -v47, v50, v49
	s_delay_alu instid0(VALU_DEP_1) | instskip(NEXT) | instid1(VALU_DEP_1)
	v_fmac_f32_e32 v50, v51, v48
	v_fma_f32 v47, -v47, v50, v49
	s_delay_alu instid0(VALU_DEP_1) | instskip(NEXT) | instid1(VALU_DEP_1)
	v_div_fmas_f32 v47, v47, v48, v50
	v_div_fixup_f32 v21, v47, v21, 1.0
.LBB11_43:
	s_or_b32 exec_lo, exec_lo, s2
	v_lshrrev_b32_e32 v48, 16, v22
	v_dual_mov_b32 v22, 0 :: v_dual_mov_b32 v47, 0
	s_mov_b32 s2, exec_lo
	s_delay_alu instid0(VALU_DEP_2)
	v_cmpx_o_f16_e32 v48, v48
	s_cbranch_execz .LBB11_45
; %bb.44:
	v_cvt_f32_f16_e64 v47, -v48
	s_mov_b32 s3, 0x3fb8aa3b
	s_delay_alu instid0(VALU_DEP_1) | instskip(SKIP_1) | instid1(VALU_DEP_1)
	v_cmp_ngt_f32_e32 vcc_lo, 0xc2ce8ed0, v47
	v_mul_f32_e32 v49, 0x3fb8aa3b, v47
	v_rndne_f32_e32 v50, v49
	v_fma_mix_f32 v51, -v48, s3, -v49 op_sel_hi:[1,0,0]
	s_mov_b32 s3, 0x32a5705f
	s_delay_alu instid0(VALU_DEP_2) | instskip(NEXT) | instid1(VALU_DEP_2)
	v_sub_f32_e32 v49, v49, v50
	v_fma_mix_f32 v48, -v48, s3, v51 op_sel_hi:[1,0,0]
	s_delay_alu instid0(VALU_DEP_1) | instskip(SKIP_1) | instid1(VALU_DEP_2)
	v_add_f32_e32 v48, v49, v48
	v_cvt_i32_f32_e32 v49, v50
	v_exp_f32_e32 v48, v48
	s_waitcnt_depctr 0xfff
	v_ldexp_f32 v48, v48, v49
	s_delay_alu instid0(VALU_DEP_1) | instskip(SKIP_1) | instid1(VALU_DEP_2)
	v_cndmask_b32_e32 v48, 0, v48, vcc_lo
	v_cmp_nlt_f32_e32 vcc_lo, 0x42b17218, v47
	v_cndmask_b32_e32 v47, 0x7f800000, v48, vcc_lo
	s_delay_alu instid0(VALU_DEP_1) | instskip(NEXT) | instid1(VALU_DEP_1)
	v_add_f32_e32 v47, 1.0, v47
	v_div_scale_f32 v48, null, v47, v47, 1.0
	s_delay_alu instid0(VALU_DEP_1) | instskip(SKIP_2) | instid1(VALU_DEP_1)
	v_rcp_f32_e32 v49, v48
	s_waitcnt_depctr 0xfff
	v_fma_f32 v50, -v48, v49, 1.0
	v_fmac_f32_e32 v49, v50, v49
	v_div_scale_f32 v50, vcc_lo, 1.0, v47, 1.0
	s_delay_alu instid0(VALU_DEP_1) | instskip(NEXT) | instid1(VALU_DEP_1)
	v_mul_f32_e32 v51, v50, v49
	v_fma_f32 v52, -v48, v51, v50
	s_delay_alu instid0(VALU_DEP_1) | instskip(NEXT) | instid1(VALU_DEP_1)
	v_fmac_f32_e32 v51, v52, v49
	v_fma_f32 v48, -v48, v51, v50
	s_delay_alu instid0(VALU_DEP_1) | instskip(NEXT) | instid1(VALU_DEP_1)
	v_div_fmas_f32 v48, v48, v49, v51
	v_div_fixup_f32 v47, v48, v47, 1.0
.LBB11_45:
	s_or_b32 exec_lo, exec_lo, s2
	s_delay_alu instid0(SALU_CYCLE_1)
	s_mov_b32 s2, exec_lo
	v_cmpx_o_f16_e32 v23, v23
	s_cbranch_execz .LBB11_47
; %bb.46:
	v_cvt_f32_f16_e64 v22, -v23
	s_mov_b32 s3, 0x3fb8aa3b
	s_delay_alu instid0(VALU_DEP_1) | instskip(SKIP_1) | instid1(VALU_DEP_2)
	v_mul_f32_e32 v48, 0x3fb8aa3b, v22
	v_cmp_ngt_f32_e32 vcc_lo, 0xc2ce8ed0, v22
	v_rndne_f32_e32 v49, v48
	v_fma_mix_f32 v50, -v23, s3, -v48 op_sel_hi:[1,0,0]
	s_mov_b32 s3, 0x32a5705f
	s_delay_alu instid0(VALU_DEP_2) | instskip(NEXT) | instid1(VALU_DEP_2)
	v_sub_f32_e32 v48, v48, v49
	v_fma_mix_f32 v50, -v23, s3, v50 op_sel_hi:[1,0,0]
	v_cvt_i32_f32_e32 v49, v49
	s_delay_alu instid0(VALU_DEP_2) | instskip(NEXT) | instid1(VALU_DEP_1)
	v_add_f32_e32 v48, v48, v50
	v_exp_f32_e32 v48, v48
	s_waitcnt_depctr 0xfff
	v_ldexp_f32 v48, v48, v49
	s_delay_alu instid0(VALU_DEP_1) | instskip(SKIP_1) | instid1(VALU_DEP_2)
	v_cndmask_b32_e32 v48, 0, v48, vcc_lo
	v_cmp_nlt_f32_e32 vcc_lo, 0x42b17218, v22
	v_cndmask_b32_e32 v22, 0x7f800000, v48, vcc_lo
	s_delay_alu instid0(VALU_DEP_1) | instskip(NEXT) | instid1(VALU_DEP_1)
	v_add_f32_e32 v22, 1.0, v22
	v_div_scale_f32 v48, null, v22, v22, 1.0
	s_delay_alu instid0(VALU_DEP_1) | instskip(SKIP_2) | instid1(VALU_DEP_1)
	v_rcp_f32_e32 v49, v48
	s_waitcnt_depctr 0xfff
	v_fma_f32 v50, -v48, v49, 1.0
	v_fmac_f32_e32 v49, v50, v49
	v_div_scale_f32 v50, vcc_lo, 1.0, v22, 1.0
	s_delay_alu instid0(VALU_DEP_1) | instskip(NEXT) | instid1(VALU_DEP_1)
	v_mul_f32_e32 v51, v50, v49
	v_fma_f32 v52, -v48, v51, v50
	s_delay_alu instid0(VALU_DEP_1) | instskip(NEXT) | instid1(VALU_DEP_1)
	v_fmac_f32_e32 v51, v52, v49
	v_fma_f32 v48, -v48, v51, v50
	s_delay_alu instid0(VALU_DEP_1) | instskip(NEXT) | instid1(VALU_DEP_1)
	v_div_fmas_f32 v48, v48, v49, v51
	v_div_fixup_f32 v22, v48, v22, 1.0
.LBB11_47:
	s_or_b32 exec_lo, exec_lo, s2
	v_lshrrev_b32_e32 v49, 16, v23
	v_dual_mov_b32 v23, 0 :: v_dual_mov_b32 v48, 0
	s_mov_b32 s2, exec_lo
	s_delay_alu instid0(VALU_DEP_2)
	v_cmpx_o_f16_e32 v49, v49
	s_cbranch_execz .LBB11_49
; %bb.48:
	v_cvt_f32_f16_e64 v48, -v49
	s_mov_b32 s3, 0x3fb8aa3b
	s_delay_alu instid0(VALU_DEP_1) | instskip(SKIP_1) | instid1(VALU_DEP_1)
	v_cmp_ngt_f32_e32 vcc_lo, 0xc2ce8ed0, v48
	v_mul_f32_e32 v50, 0x3fb8aa3b, v48
	v_rndne_f32_e32 v51, v50
	v_fma_mix_f32 v52, -v49, s3, -v50 op_sel_hi:[1,0,0]
	s_mov_b32 s3, 0x32a5705f
	s_delay_alu instid0(VALU_DEP_2) | instskip(NEXT) | instid1(VALU_DEP_2)
	v_sub_f32_e32 v50, v50, v51
	v_fma_mix_f32 v49, -v49, s3, v52 op_sel_hi:[1,0,0]
	s_delay_alu instid0(VALU_DEP_1) | instskip(SKIP_1) | instid1(VALU_DEP_2)
	v_add_f32_e32 v49, v50, v49
	v_cvt_i32_f32_e32 v50, v51
	v_exp_f32_e32 v49, v49
	s_waitcnt_depctr 0xfff
	v_ldexp_f32 v49, v49, v50
	s_delay_alu instid0(VALU_DEP_1) | instskip(SKIP_1) | instid1(VALU_DEP_2)
	v_cndmask_b32_e32 v49, 0, v49, vcc_lo
	v_cmp_nlt_f32_e32 vcc_lo, 0x42b17218, v48
	v_cndmask_b32_e32 v48, 0x7f800000, v49, vcc_lo
	s_delay_alu instid0(VALU_DEP_1) | instskip(NEXT) | instid1(VALU_DEP_1)
	v_add_f32_e32 v48, 1.0, v48
	v_div_scale_f32 v49, null, v48, v48, 1.0
	s_delay_alu instid0(VALU_DEP_1) | instskip(SKIP_2) | instid1(VALU_DEP_1)
	v_rcp_f32_e32 v50, v49
	s_waitcnt_depctr 0xfff
	v_fma_f32 v51, -v49, v50, 1.0
	v_fmac_f32_e32 v50, v51, v50
	v_div_scale_f32 v51, vcc_lo, 1.0, v48, 1.0
	s_delay_alu instid0(VALU_DEP_1) | instskip(NEXT) | instid1(VALU_DEP_1)
	v_mul_f32_e32 v52, v51, v50
	v_fma_f32 v53, -v49, v52, v51
	s_delay_alu instid0(VALU_DEP_1) | instskip(NEXT) | instid1(VALU_DEP_1)
	v_fmac_f32_e32 v52, v53, v50
	v_fma_f32 v49, -v49, v52, v51
	s_delay_alu instid0(VALU_DEP_1) | instskip(NEXT) | instid1(VALU_DEP_1)
	v_div_fmas_f32 v49, v49, v50, v52
	v_div_fixup_f32 v48, v49, v48, 1.0
.LBB11_49:
	s_or_b32 exec_lo, exec_lo, s2
	s_delay_alu instid0(SALU_CYCLE_1)
	s_mov_b32 s2, exec_lo
	v_cmpx_o_f16_e32 v16, v16
	s_cbranch_execz .LBB11_51
; %bb.50:
	v_cvt_f32_f16_e64 v23, -v16
	s_mov_b32 s3, 0x3fb8aa3b
	s_delay_alu instid0(VALU_DEP_1) | instskip(SKIP_1) | instid1(VALU_DEP_2)
	v_mul_f32_e32 v49, 0x3fb8aa3b, v23
	v_cmp_ngt_f32_e32 vcc_lo, 0xc2ce8ed0, v23
	v_rndne_f32_e32 v50, v49
	v_fma_mix_f32 v51, -v16, s3, -v49 op_sel_hi:[1,0,0]
	s_mov_b32 s3, 0x32a5705f
	s_delay_alu instid0(VALU_DEP_2) | instskip(NEXT) | instid1(VALU_DEP_2)
	v_sub_f32_e32 v49, v49, v50
	v_fma_mix_f32 v51, -v16, s3, v51 op_sel_hi:[1,0,0]
	v_cvt_i32_f32_e32 v50, v50
	s_delay_alu instid0(VALU_DEP_2) | instskip(NEXT) | instid1(VALU_DEP_1)
	v_add_f32_e32 v49, v49, v51
	v_exp_f32_e32 v49, v49
	s_waitcnt_depctr 0xfff
	v_ldexp_f32 v49, v49, v50
	s_delay_alu instid0(VALU_DEP_1) | instskip(SKIP_1) | instid1(VALU_DEP_2)
	v_cndmask_b32_e32 v49, 0, v49, vcc_lo
	v_cmp_nlt_f32_e32 vcc_lo, 0x42b17218, v23
	v_cndmask_b32_e32 v23, 0x7f800000, v49, vcc_lo
	s_delay_alu instid0(VALU_DEP_1) | instskip(NEXT) | instid1(VALU_DEP_1)
	v_add_f32_e32 v23, 1.0, v23
	v_div_scale_f32 v49, null, v23, v23, 1.0
	s_delay_alu instid0(VALU_DEP_1) | instskip(SKIP_2) | instid1(VALU_DEP_1)
	v_rcp_f32_e32 v50, v49
	s_waitcnt_depctr 0xfff
	v_fma_f32 v51, -v49, v50, 1.0
	v_fmac_f32_e32 v50, v51, v50
	v_div_scale_f32 v51, vcc_lo, 1.0, v23, 1.0
	s_delay_alu instid0(VALU_DEP_1) | instskip(NEXT) | instid1(VALU_DEP_1)
	v_mul_f32_e32 v52, v51, v50
	v_fma_f32 v53, -v49, v52, v51
	s_delay_alu instid0(VALU_DEP_1) | instskip(NEXT) | instid1(VALU_DEP_1)
	v_fmac_f32_e32 v52, v53, v50
	v_fma_f32 v49, -v49, v52, v51
	s_delay_alu instid0(VALU_DEP_1) | instskip(NEXT) | instid1(VALU_DEP_1)
	v_div_fmas_f32 v49, v49, v50, v52
	v_div_fixup_f32 v23, v49, v23, 1.0
.LBB11_51:
	s_or_b32 exec_lo, exec_lo, s2
	v_lshrrev_b32_e32 v50, 16, v16
	v_dual_mov_b32 v16, 0 :: v_dual_mov_b32 v49, 0
	s_mov_b32 s2, exec_lo
	s_delay_alu instid0(VALU_DEP_2)
	v_cmpx_o_f16_e32 v50, v50
	s_cbranch_execz .LBB11_53
; %bb.52:
	v_cvt_f32_f16_e64 v49, -v50
	s_mov_b32 s3, 0x3fb8aa3b
	s_delay_alu instid0(VALU_DEP_1) | instskip(SKIP_1) | instid1(VALU_DEP_1)
	v_cmp_ngt_f32_e32 vcc_lo, 0xc2ce8ed0, v49
	v_mul_f32_e32 v51, 0x3fb8aa3b, v49
	v_rndne_f32_e32 v52, v51
	v_fma_mix_f32 v53, -v50, s3, -v51 op_sel_hi:[1,0,0]
	s_mov_b32 s3, 0x32a5705f
	s_delay_alu instid0(VALU_DEP_2) | instskip(NEXT) | instid1(VALU_DEP_2)
	v_sub_f32_e32 v51, v51, v52
	v_fma_mix_f32 v50, -v50, s3, v53 op_sel_hi:[1,0,0]
	s_delay_alu instid0(VALU_DEP_1) | instskip(SKIP_1) | instid1(VALU_DEP_2)
	v_add_f32_e32 v50, v51, v50
	v_cvt_i32_f32_e32 v51, v52
	v_exp_f32_e32 v50, v50
	s_waitcnt_depctr 0xfff
	v_ldexp_f32 v50, v50, v51
	s_delay_alu instid0(VALU_DEP_1) | instskip(SKIP_1) | instid1(VALU_DEP_2)
	v_cndmask_b32_e32 v50, 0, v50, vcc_lo
	v_cmp_nlt_f32_e32 vcc_lo, 0x42b17218, v49
	v_cndmask_b32_e32 v49, 0x7f800000, v50, vcc_lo
	s_delay_alu instid0(VALU_DEP_1) | instskip(NEXT) | instid1(VALU_DEP_1)
	v_add_f32_e32 v49, 1.0, v49
	v_div_scale_f32 v50, null, v49, v49, 1.0
	s_delay_alu instid0(VALU_DEP_1) | instskip(SKIP_2) | instid1(VALU_DEP_1)
	v_rcp_f32_e32 v51, v50
	s_waitcnt_depctr 0xfff
	v_fma_f32 v52, -v50, v51, 1.0
	v_fmac_f32_e32 v51, v52, v51
	v_div_scale_f32 v52, vcc_lo, 1.0, v49, 1.0
	s_delay_alu instid0(VALU_DEP_1) | instskip(NEXT) | instid1(VALU_DEP_1)
	v_mul_f32_e32 v53, v52, v51
	v_fma_f32 v54, -v50, v53, v52
	s_delay_alu instid0(VALU_DEP_1) | instskip(NEXT) | instid1(VALU_DEP_1)
	v_fmac_f32_e32 v53, v54, v51
	v_fma_f32 v50, -v50, v53, v52
	s_delay_alu instid0(VALU_DEP_1) | instskip(NEXT) | instid1(VALU_DEP_1)
	v_div_fmas_f32 v50, v50, v51, v53
	v_div_fixup_f32 v49, v50, v49, 1.0
.LBB11_53:
	s_or_b32 exec_lo, exec_lo, s2
	s_delay_alu instid0(SALU_CYCLE_1)
	s_mov_b32 s2, exec_lo
	v_cmpx_o_f16_e32 v17, v17
	s_cbranch_execz .LBB11_55
; %bb.54:
	v_cvt_f32_f16_e64 v16, -v17
	s_mov_b32 s3, 0x3fb8aa3b
	s_delay_alu instid0(VALU_DEP_1) | instskip(SKIP_1) | instid1(VALU_DEP_2)
	v_mul_f32_e32 v50, 0x3fb8aa3b, v16
	v_cmp_ngt_f32_e32 vcc_lo, 0xc2ce8ed0, v16
	v_rndne_f32_e32 v51, v50
	v_fma_mix_f32 v52, -v17, s3, -v50 op_sel_hi:[1,0,0]
	s_mov_b32 s3, 0x32a5705f
	s_delay_alu instid0(VALU_DEP_2) | instskip(NEXT) | instid1(VALU_DEP_2)
	v_sub_f32_e32 v50, v50, v51
	v_fma_mix_f32 v52, -v17, s3, v52 op_sel_hi:[1,0,0]
	v_cvt_i32_f32_e32 v51, v51
	s_delay_alu instid0(VALU_DEP_2) | instskip(NEXT) | instid1(VALU_DEP_1)
	v_add_f32_e32 v50, v50, v52
	v_exp_f32_e32 v50, v50
	s_waitcnt_depctr 0xfff
	v_ldexp_f32 v50, v50, v51
	s_delay_alu instid0(VALU_DEP_1) | instskip(SKIP_1) | instid1(VALU_DEP_2)
	v_cndmask_b32_e32 v50, 0, v50, vcc_lo
	v_cmp_nlt_f32_e32 vcc_lo, 0x42b17218, v16
	v_cndmask_b32_e32 v16, 0x7f800000, v50, vcc_lo
	s_delay_alu instid0(VALU_DEP_1) | instskip(NEXT) | instid1(VALU_DEP_1)
	v_add_f32_e32 v16, 1.0, v16
	v_div_scale_f32 v50, null, v16, v16, 1.0
	s_delay_alu instid0(VALU_DEP_1) | instskip(SKIP_2) | instid1(VALU_DEP_1)
	v_rcp_f32_e32 v51, v50
	s_waitcnt_depctr 0xfff
	v_fma_f32 v52, -v50, v51, 1.0
	v_fmac_f32_e32 v51, v52, v51
	v_div_scale_f32 v52, vcc_lo, 1.0, v16, 1.0
	s_delay_alu instid0(VALU_DEP_1) | instskip(NEXT) | instid1(VALU_DEP_1)
	v_mul_f32_e32 v53, v52, v51
	v_fma_f32 v54, -v50, v53, v52
	s_delay_alu instid0(VALU_DEP_1) | instskip(NEXT) | instid1(VALU_DEP_1)
	v_fmac_f32_e32 v53, v54, v51
	v_fma_f32 v50, -v50, v53, v52
	s_delay_alu instid0(VALU_DEP_1) | instskip(NEXT) | instid1(VALU_DEP_1)
	v_div_fmas_f32 v50, v50, v51, v53
	v_div_fixup_f32 v16, v50, v16, 1.0
.LBB11_55:
	s_or_b32 exec_lo, exec_lo, s2
	v_lshrrev_b32_e32 v51, 16, v17
	v_dual_mov_b32 v17, 0 :: v_dual_mov_b32 v50, 0
	s_mov_b32 s2, exec_lo
	s_delay_alu instid0(VALU_DEP_2)
	v_cmpx_o_f16_e32 v51, v51
	s_cbranch_execz .LBB11_57
; %bb.56:
	v_cvt_f32_f16_e64 v50, -v51
	s_mov_b32 s3, 0x3fb8aa3b
	s_delay_alu instid0(VALU_DEP_1) | instskip(SKIP_1) | instid1(VALU_DEP_1)
	v_cmp_ngt_f32_e32 vcc_lo, 0xc2ce8ed0, v50
	v_mul_f32_e32 v52, 0x3fb8aa3b, v50
	v_rndne_f32_e32 v53, v52
	v_fma_mix_f32 v54, -v51, s3, -v52 op_sel_hi:[1,0,0]
	s_mov_b32 s3, 0x32a5705f
	s_delay_alu instid0(VALU_DEP_2) | instskip(NEXT) | instid1(VALU_DEP_2)
	v_sub_f32_e32 v52, v52, v53
	v_fma_mix_f32 v51, -v51, s3, v54 op_sel_hi:[1,0,0]
	s_delay_alu instid0(VALU_DEP_1) | instskip(SKIP_1) | instid1(VALU_DEP_2)
	v_add_f32_e32 v51, v52, v51
	v_cvt_i32_f32_e32 v52, v53
	v_exp_f32_e32 v51, v51
	s_waitcnt_depctr 0xfff
	v_ldexp_f32 v51, v51, v52
	s_delay_alu instid0(VALU_DEP_1) | instskip(SKIP_1) | instid1(VALU_DEP_2)
	v_cndmask_b32_e32 v51, 0, v51, vcc_lo
	v_cmp_nlt_f32_e32 vcc_lo, 0x42b17218, v50
	v_cndmask_b32_e32 v50, 0x7f800000, v51, vcc_lo
	s_delay_alu instid0(VALU_DEP_1) | instskip(NEXT) | instid1(VALU_DEP_1)
	v_add_f32_e32 v50, 1.0, v50
	v_div_scale_f32 v51, null, v50, v50, 1.0
	s_delay_alu instid0(VALU_DEP_1) | instskip(SKIP_2) | instid1(VALU_DEP_1)
	v_rcp_f32_e32 v52, v51
	s_waitcnt_depctr 0xfff
	v_fma_f32 v53, -v51, v52, 1.0
	v_fmac_f32_e32 v52, v53, v52
	v_div_scale_f32 v53, vcc_lo, 1.0, v50, 1.0
	s_delay_alu instid0(VALU_DEP_1) | instskip(NEXT) | instid1(VALU_DEP_1)
	v_mul_f32_e32 v54, v53, v52
	v_fma_f32 v55, -v51, v54, v53
	s_delay_alu instid0(VALU_DEP_1) | instskip(NEXT) | instid1(VALU_DEP_1)
	v_fmac_f32_e32 v54, v55, v52
	v_fma_f32 v51, -v51, v54, v53
	s_delay_alu instid0(VALU_DEP_1) | instskip(NEXT) | instid1(VALU_DEP_1)
	v_div_fmas_f32 v51, v51, v52, v54
	v_div_fixup_f32 v50, v51, v50, 1.0
.LBB11_57:
	s_or_b32 exec_lo, exec_lo, s2
	s_delay_alu instid0(SALU_CYCLE_1)
	s_mov_b32 s2, exec_lo
	v_cmpx_o_f16_e32 v18, v18
	s_cbranch_execz .LBB11_59
; %bb.58:
	v_cvt_f32_f16_e64 v17, -v18
	s_mov_b32 s3, 0x3fb8aa3b
	s_delay_alu instid0(VALU_DEP_1) | instskip(SKIP_1) | instid1(VALU_DEP_2)
	v_mul_f32_e32 v51, 0x3fb8aa3b, v17
	v_cmp_ngt_f32_e32 vcc_lo, 0xc2ce8ed0, v17
	v_rndne_f32_e32 v52, v51
	v_fma_mix_f32 v53, -v18, s3, -v51 op_sel_hi:[1,0,0]
	s_mov_b32 s3, 0x32a5705f
	s_delay_alu instid0(VALU_DEP_2) | instskip(NEXT) | instid1(VALU_DEP_2)
	v_sub_f32_e32 v51, v51, v52
	v_fma_mix_f32 v53, -v18, s3, v53 op_sel_hi:[1,0,0]
	v_cvt_i32_f32_e32 v52, v52
	s_delay_alu instid0(VALU_DEP_2) | instskip(NEXT) | instid1(VALU_DEP_1)
	v_add_f32_e32 v51, v51, v53
	v_exp_f32_e32 v51, v51
	s_waitcnt_depctr 0xfff
	v_ldexp_f32 v51, v51, v52
	s_delay_alu instid0(VALU_DEP_1) | instskip(SKIP_1) | instid1(VALU_DEP_2)
	v_cndmask_b32_e32 v51, 0, v51, vcc_lo
	v_cmp_nlt_f32_e32 vcc_lo, 0x42b17218, v17
	v_cndmask_b32_e32 v17, 0x7f800000, v51, vcc_lo
	s_delay_alu instid0(VALU_DEP_1) | instskip(NEXT) | instid1(VALU_DEP_1)
	v_add_f32_e32 v17, 1.0, v17
	v_div_scale_f32 v51, null, v17, v17, 1.0
	s_delay_alu instid0(VALU_DEP_1) | instskip(SKIP_2) | instid1(VALU_DEP_1)
	v_rcp_f32_e32 v52, v51
	s_waitcnt_depctr 0xfff
	v_fma_f32 v53, -v51, v52, 1.0
	v_fmac_f32_e32 v52, v53, v52
	v_div_scale_f32 v53, vcc_lo, 1.0, v17, 1.0
	s_delay_alu instid0(VALU_DEP_1) | instskip(NEXT) | instid1(VALU_DEP_1)
	v_mul_f32_e32 v54, v53, v52
	v_fma_f32 v55, -v51, v54, v53
	s_delay_alu instid0(VALU_DEP_1) | instskip(NEXT) | instid1(VALU_DEP_1)
	v_fmac_f32_e32 v54, v55, v52
	v_fma_f32 v51, -v51, v54, v53
	s_delay_alu instid0(VALU_DEP_1) | instskip(NEXT) | instid1(VALU_DEP_1)
	v_div_fmas_f32 v51, v51, v52, v54
	v_div_fixup_f32 v17, v51, v17, 1.0
.LBB11_59:
	s_or_b32 exec_lo, exec_lo, s2
	v_lshrrev_b32_e32 v52, 16, v18
	v_dual_mov_b32 v18, 0 :: v_dual_mov_b32 v51, 0
	s_mov_b32 s2, exec_lo
	s_delay_alu instid0(VALU_DEP_2)
	v_cmpx_o_f16_e32 v52, v52
	s_cbranch_execz .LBB11_61
; %bb.60:
	v_cvt_f32_f16_e64 v51, -v52
	s_mov_b32 s3, 0x3fb8aa3b
	s_delay_alu instid0(VALU_DEP_1) | instskip(SKIP_1) | instid1(VALU_DEP_1)
	v_cmp_ngt_f32_e32 vcc_lo, 0xc2ce8ed0, v51
	v_mul_f32_e32 v53, 0x3fb8aa3b, v51
	v_rndne_f32_e32 v54, v53
	v_fma_mix_f32 v55, -v52, s3, -v53 op_sel_hi:[1,0,0]
	s_mov_b32 s3, 0x32a5705f
	s_delay_alu instid0(VALU_DEP_2) | instskip(NEXT) | instid1(VALU_DEP_2)
	v_sub_f32_e32 v53, v53, v54
	v_fma_mix_f32 v52, -v52, s3, v55 op_sel_hi:[1,0,0]
	s_delay_alu instid0(VALU_DEP_1) | instskip(SKIP_1) | instid1(VALU_DEP_2)
	v_add_f32_e32 v52, v53, v52
	v_cvt_i32_f32_e32 v53, v54
	v_exp_f32_e32 v52, v52
	s_waitcnt_depctr 0xfff
	v_ldexp_f32 v52, v52, v53
	s_delay_alu instid0(VALU_DEP_1) | instskip(SKIP_1) | instid1(VALU_DEP_2)
	v_cndmask_b32_e32 v52, 0, v52, vcc_lo
	v_cmp_nlt_f32_e32 vcc_lo, 0x42b17218, v51
	v_cndmask_b32_e32 v51, 0x7f800000, v52, vcc_lo
	s_delay_alu instid0(VALU_DEP_1) | instskip(NEXT) | instid1(VALU_DEP_1)
	v_add_f32_e32 v51, 1.0, v51
	v_div_scale_f32 v52, null, v51, v51, 1.0
	s_delay_alu instid0(VALU_DEP_1) | instskip(SKIP_2) | instid1(VALU_DEP_1)
	v_rcp_f32_e32 v53, v52
	s_waitcnt_depctr 0xfff
	v_fma_f32 v54, -v52, v53, 1.0
	v_fmac_f32_e32 v53, v54, v53
	v_div_scale_f32 v54, vcc_lo, 1.0, v51, 1.0
	s_delay_alu instid0(VALU_DEP_1) | instskip(NEXT) | instid1(VALU_DEP_1)
	v_mul_f32_e32 v55, v54, v53
	v_fma_f32 v56, -v52, v55, v54
	s_delay_alu instid0(VALU_DEP_1) | instskip(NEXT) | instid1(VALU_DEP_1)
	v_fmac_f32_e32 v55, v56, v53
	v_fma_f32 v52, -v52, v55, v54
	s_delay_alu instid0(VALU_DEP_1) | instskip(NEXT) | instid1(VALU_DEP_1)
	v_div_fmas_f32 v52, v52, v53, v55
	v_div_fixup_f32 v51, v52, v51, 1.0
.LBB11_61:
	s_or_b32 exec_lo, exec_lo, s2
	s_delay_alu instid0(SALU_CYCLE_1)
	s_mov_b32 s2, exec_lo
	v_cmpx_o_f16_e32 v19, v19
	s_cbranch_execz .LBB11_63
; %bb.62:
	v_cvt_f32_f16_e64 v18, -v19
	s_mov_b32 s3, 0x3fb8aa3b
	s_delay_alu instid0(VALU_DEP_1) | instskip(SKIP_1) | instid1(VALU_DEP_2)
	v_mul_f32_e32 v52, 0x3fb8aa3b, v18
	v_cmp_ngt_f32_e32 vcc_lo, 0xc2ce8ed0, v18
	v_rndne_f32_e32 v53, v52
	v_fma_mix_f32 v54, -v19, s3, -v52 op_sel_hi:[1,0,0]
	s_mov_b32 s3, 0x32a5705f
	s_delay_alu instid0(VALU_DEP_2) | instskip(NEXT) | instid1(VALU_DEP_2)
	v_sub_f32_e32 v52, v52, v53
	v_fma_mix_f32 v54, -v19, s3, v54 op_sel_hi:[1,0,0]
	v_cvt_i32_f32_e32 v53, v53
	s_delay_alu instid0(VALU_DEP_2) | instskip(NEXT) | instid1(VALU_DEP_1)
	v_add_f32_e32 v52, v52, v54
	v_exp_f32_e32 v52, v52
	s_waitcnt_depctr 0xfff
	v_ldexp_f32 v52, v52, v53
	s_delay_alu instid0(VALU_DEP_1) | instskip(SKIP_1) | instid1(VALU_DEP_2)
	v_cndmask_b32_e32 v52, 0, v52, vcc_lo
	v_cmp_nlt_f32_e32 vcc_lo, 0x42b17218, v18
	v_cndmask_b32_e32 v18, 0x7f800000, v52, vcc_lo
	s_delay_alu instid0(VALU_DEP_1) | instskip(NEXT) | instid1(VALU_DEP_1)
	v_add_f32_e32 v18, 1.0, v18
	v_div_scale_f32 v52, null, v18, v18, 1.0
	s_delay_alu instid0(VALU_DEP_1) | instskip(SKIP_2) | instid1(VALU_DEP_1)
	v_rcp_f32_e32 v53, v52
	s_waitcnt_depctr 0xfff
	v_fma_f32 v54, -v52, v53, 1.0
	v_fmac_f32_e32 v53, v54, v53
	v_div_scale_f32 v54, vcc_lo, 1.0, v18, 1.0
	s_delay_alu instid0(VALU_DEP_1) | instskip(NEXT) | instid1(VALU_DEP_1)
	v_mul_f32_e32 v55, v54, v53
	v_fma_f32 v56, -v52, v55, v54
	s_delay_alu instid0(VALU_DEP_1) | instskip(NEXT) | instid1(VALU_DEP_1)
	v_fmac_f32_e32 v55, v56, v53
	v_fma_f32 v52, -v52, v55, v54
	s_delay_alu instid0(VALU_DEP_1) | instskip(NEXT) | instid1(VALU_DEP_1)
	v_div_fmas_f32 v52, v52, v53, v55
	v_div_fixup_f32 v18, v52, v18, 1.0
.LBB11_63:
	s_or_b32 exec_lo, exec_lo, s2
	v_lshrrev_b32_e32 v52, 16, v19
	v_mov_b32_e32 v19, 0
	s_mov_b32 s2, exec_lo
	s_delay_alu instid0(VALU_DEP_2)
	v_cmpx_o_f16_e32 v52, v52
	s_cbranch_execz .LBB11_65
; %bb.64:
	v_cvt_f32_f16_e64 v19, -v52
	s_mov_b32 s3, 0x3fb8aa3b
	s_delay_alu instid0(VALU_DEP_1) | instskip(SKIP_1) | instid1(VALU_DEP_1)
	v_cmp_ngt_f32_e32 vcc_lo, 0xc2ce8ed0, v19
	v_mul_f32_e32 v53, 0x3fb8aa3b, v19
	v_rndne_f32_e32 v54, v53
	v_fma_mix_f32 v55, -v52, s3, -v53 op_sel_hi:[1,0,0]
	s_mov_b32 s3, 0x32a5705f
	s_delay_alu instid0(VALU_DEP_2) | instskip(NEXT) | instid1(VALU_DEP_2)
	v_sub_f32_e32 v53, v53, v54
	v_fma_mix_f32 v52, -v52, s3, v55 op_sel_hi:[1,0,0]
	s_delay_alu instid0(VALU_DEP_1) | instskip(SKIP_1) | instid1(VALU_DEP_2)
	v_add_f32_e32 v52, v53, v52
	v_cvt_i32_f32_e32 v53, v54
	v_exp_f32_e32 v52, v52
	s_waitcnt_depctr 0xfff
	v_ldexp_f32 v52, v52, v53
	s_delay_alu instid0(VALU_DEP_1) | instskip(SKIP_1) | instid1(VALU_DEP_2)
	v_cndmask_b32_e32 v52, 0, v52, vcc_lo
	v_cmp_nlt_f32_e32 vcc_lo, 0x42b17218, v19
	v_cndmask_b32_e32 v19, 0x7f800000, v52, vcc_lo
	s_delay_alu instid0(VALU_DEP_1) | instskip(NEXT) | instid1(VALU_DEP_1)
	v_add_f32_e32 v19, 1.0, v19
	v_div_scale_f32 v52, null, v19, v19, 1.0
	s_delay_alu instid0(VALU_DEP_1) | instskip(SKIP_2) | instid1(VALU_DEP_1)
	v_rcp_f32_e32 v53, v52
	s_waitcnt_depctr 0xfff
	v_fma_f32 v54, -v52, v53, 1.0
	v_fmac_f32_e32 v53, v54, v53
	v_div_scale_f32 v54, vcc_lo, 1.0, v19, 1.0
	s_delay_alu instid0(VALU_DEP_1) | instskip(NEXT) | instid1(VALU_DEP_1)
	v_mul_f32_e32 v55, v54, v53
	v_fma_f32 v56, -v52, v55, v54
	s_delay_alu instid0(VALU_DEP_1) | instskip(NEXT) | instid1(VALU_DEP_1)
	v_fmac_f32_e32 v55, v56, v53
	v_fma_f32 v52, -v52, v55, v54
	s_delay_alu instid0(VALU_DEP_1) | instskip(NEXT) | instid1(VALU_DEP_1)
	v_div_fmas_f32 v52, v52, v53, v55
	v_div_fixup_f32 v19, v52, v19, 1.0
.LBB11_65:
	s_or_b32 exec_lo, exec_lo, s2
	s_waitcnt vmcnt(0)
	v_lshrrev_b32_e32 v52, 16, v12
	v_cvt_f32_f16_e32 v12, v12
	s_mov_b32 s2, exec_lo
	s_delay_alu instid0(VALU_DEP_2) | instskip(NEXT) | instid1(VALU_DEP_1)
	v_cvt_f32_f16_e32 v52, v52
	v_add_f32_e32 v52, v36, v52
	s_delay_alu instid0(VALU_DEP_1) | instskip(NEXT) | instid1(VALU_DEP_1)
	v_dual_add_f32 v12, v35, v12 :: v_dual_mov_b32 v57, v52
	v_max_f32_e32 v53, 0xff7fffff, v12
	s_delay_alu instid0(VALU_DEP_1)
	v_mov_b32_e32 v54, v53
	v_cmpx_ngt_f32_e32 v52, v53
	s_cbranch_execz .LBB11_69
; %bb.66:
	v_mov_b32_e32 v54, 0xff7fffff
	s_mov_b32 s3, exec_lo
	v_cmpx_lt_f32_e32 0xff7fffff, v52
; %bb.67:
	v_mov_b32_e32 v54, v52
; %bb.68:
	s_or_b32 exec_lo, exec_lo, s3
	v_mov_b32_e32 v57, v53
.LBB11_69:
	s_or_b32 exec_lo, exec_lo, s2
	v_cvt_f32_f16_e32 v53, v13
	s_delay_alu instid0(VALU_DEP_2) | instskip(SKIP_1) | instid1(VALU_DEP_2)
	v_mov_b32_e32 v55, v57
	s_mov_b32 s2, exec_lo
	v_add_f32_e32 v53, v28, v53
	s_delay_alu instid0(VALU_DEP_1)
	v_mov_b32_e32 v56, v53
	v_cmpx_ngt_f32_e32 v53, v57
	s_cbranch_execz .LBB11_73
; %bb.70:
	s_mov_b32 s3, exec_lo
	v_cmpx_gt_f32_e32 v53, v54
; %bb.71:
	v_mov_b32_e32 v54, v53
; %bb.72:
	s_or_b32 exec_lo, exec_lo, s3
	s_delay_alu instid0(VALU_DEP_1)
	v_dual_mov_b32 v55, v54 :: v_dual_mov_b32 v56, v57
.LBB11_73:
	s_or_b32 exec_lo, exec_lo, s2
	v_lshrrev_b32_e32 v13, 16, v13
	s_mov_b32 s2, exec_lo
	s_delay_alu instid0(VALU_DEP_1) | instskip(NEXT) | instid1(VALU_DEP_1)
	v_cvt_f32_f16_e32 v13, v13
	v_add_f32_e32 v13, v37, v13
	s_delay_alu instid0(VALU_DEP_1)
	v_dual_mov_b32 v57, v56 :: v_dual_mov_b32 v58, v13
	v_cmpx_ngt_f32_e32 v13, v56
	s_cbranch_execz .LBB11_77
; %bb.74:
	s_mov_b32 s3, exec_lo
	v_cmpx_gt_f32_e32 v13, v55
; %bb.75:
	v_mov_b32_e32 v55, v13
; %bb.76:
	s_or_b32 exec_lo, exec_lo, s3
	s_delay_alu instid0(VALU_DEP_1)
	v_dual_mov_b32 v57, v55 :: v_dual_mov_b32 v58, v56
.LBB11_77:
	s_or_b32 exec_lo, exec_lo, s2
	v_cvt_f32_f16_e32 v54, v14
	s_mov_b32 s2, exec_lo
	s_delay_alu instid0(VALU_DEP_1) | instskip(NEXT) | instid1(VALU_DEP_1)
	v_dual_mov_b32 v55, v58 :: v_dual_add_f32 v54, v29, v54
	v_mov_b32_e32 v56, v54
	v_cmpx_ngt_f32_e32 v54, v58
	s_cbranch_execz .LBB11_81
; %bb.78:
	s_mov_b32 s3, exec_lo
	v_cmpx_gt_f32_e32 v54, v57
; %bb.79:
	v_mov_b32_e32 v57, v54
; %bb.80:
	s_or_b32 exec_lo, exec_lo, s3
	s_delay_alu instid0(VALU_DEP_1)
	v_dual_mov_b32 v55, v57 :: v_dual_mov_b32 v56, v58
.LBB11_81:
	s_or_b32 exec_lo, exec_lo, s2
	v_lshrrev_b32_e32 v14, 16, v14
	s_mov_b32 s2, exec_lo
	s_delay_alu instid0(VALU_DEP_1) | instskip(NEXT) | instid1(VALU_DEP_1)
	v_cvt_f32_f16_e32 v14, v14
	v_add_f32_e32 v14, v38, v14
	s_delay_alu instid0(VALU_DEP_1)
	v_dual_mov_b32 v58, v56 :: v_dual_mov_b32 v59, v14
	v_cmpx_ngt_f32_e32 v14, v56
	s_cbranch_execz .LBB11_85
; %bb.82:
	s_mov_b32 s3, exec_lo
	v_cmpx_gt_f32_e32 v14, v55
; %bb.83:
	v_mov_b32_e32 v55, v14
; %bb.84:
	s_or_b32 exec_lo, exec_lo, s3
	s_delay_alu instid0(VALU_DEP_1)
	v_dual_mov_b32 v58, v55 :: v_dual_mov_b32 v59, v56
.LBB11_85:
	s_or_b32 exec_lo, exec_lo, s2
	v_cvt_f32_f16_e32 v55, v15
	s_mov_b32 s2, exec_lo
	s_delay_alu instid0(VALU_DEP_1) | instskip(NEXT) | instid1(VALU_DEP_1)
	v_dual_mov_b32 v56, v59 :: v_dual_add_f32 v55, v30, v55
	;; [unrolled: 38-line block ×6, first 2 shown]
	v_mov_b32_e32 v61, v59
	v_cmpx_ngt_f32_e32 v59, v63
	s_cbranch_execz .LBB11_121
; %bb.118:
	s_mov_b32 s3, exec_lo
	v_cmpx_gt_f32_e32 v59, v62
; %bb.119:
	v_mov_b32_e32 v62, v59
; %bb.120:
	s_or_b32 exec_lo, exec_lo, s3
	s_delay_alu instid0(VALU_DEP_1)
	v_dual_mov_b32 v60, v62 :: v_dual_mov_b32 v61, v63
.LBB11_121:
	s_or_b32 exec_lo, exec_lo, s2
	v_lshrrev_b32_e32 v11, 16, v11
	s_mov_b32 s2, exec_lo
	s_delay_alu instid0(VALU_DEP_2) | instskip(NEXT) | instid1(VALU_DEP_2)
	v_mov_b32_e32 v64, v61
	v_cvt_f32_f16_e32 v11, v11
	s_delay_alu instid0(VALU_DEP_1) | instskip(NEXT) | instid1(VALU_DEP_1)
	v_add_f32_e32 v11, v44, v11
	v_mov_b32_e32 v65, v11
	v_cmpx_ngt_f32_e32 v11, v61
	s_cbranch_execz .LBB11_125
; %bb.122:
	s_mov_b32 s3, exec_lo
	v_cmpx_gt_f32_e32 v11, v60
; %bb.123:
	v_mov_b32_e32 v60, v11
; %bb.124:
	s_or_b32 exec_lo, exec_lo, s3
	s_delay_alu instid0(VALU_DEP_1)
	v_dual_mov_b32 v64, v60 :: v_dual_mov_b32 v65, v61
.LBB11_125:
	s_or_b32 exec_lo, exec_lo, s2
	v_cvt_f32_f16_e32 v60, v4
	s_mov_b32 s2, exec_lo
	s_delay_alu instid0(VALU_DEP_1) | instskip(NEXT) | instid1(VALU_DEP_1)
	v_add_f32_e32 v60, v27, v60
	v_dual_mov_b32 v62, v65 :: v_dual_mov_b32 v63, v60
	v_cmpx_ngt_f32_e32 v60, v65
	s_cbranch_execz .LBB11_129
; %bb.126:
	s_mov_b32 s3, exec_lo
	v_cmpx_gt_f32_e32 v60, v64
; %bb.127:
	v_mov_b32_e32 v64, v60
; %bb.128:
	s_or_b32 exec_lo, exec_lo, s3
	s_delay_alu instid0(VALU_DEP_1)
	v_dual_mov_b32 v62, v64 :: v_dual_mov_b32 v63, v65
.LBB11_129:
	s_or_b32 exec_lo, exec_lo, s2
	v_lshrrev_b32_e32 v4, 16, v4
	s_mov_b32 s2, exec_lo
	s_delay_alu instid0(VALU_DEP_1) | instskip(NEXT) | instid1(VALU_DEP_1)
	v_cvt_f32_f16_e32 v4, v4
	v_add_f32_e32 v61, v45, v4
	s_delay_alu instid0(VALU_DEP_1)
	v_dual_mov_b32 v65, v63 :: v_dual_mov_b32 v66, v61
	v_cmpx_ngt_f32_e32 v61, v63
	s_cbranch_execz .LBB11_133
; %bb.130:
	s_mov_b32 s3, exec_lo
	v_cmpx_gt_f32_e32 v61, v62
; %bb.131:
	v_mov_b32_e32 v62, v61
; %bb.132:
	s_or_b32 exec_lo, exec_lo, s3
	s_delay_alu instid0(VALU_DEP_1)
	v_dual_mov_b32 v65, v62 :: v_dual_mov_b32 v66, v63
.LBB11_133:
	s_or_b32 exec_lo, exec_lo, s2
	v_cvt_f32_f16_e32 v4, v5
	s_mov_b32 s2, exec_lo
	s_delay_alu instid0(VALU_DEP_1) | instskip(SKIP_1) | instid1(VALU_DEP_2)
	v_add_f32_e32 v62, v20, v4
	v_mov_b32_e32 v4, v66
	v_mov_b32_e32 v64, v62
	v_cmpx_ngt_f32_e32 v62, v66
	s_cbranch_execz .LBB11_137
; %bb.134:
	s_mov_b32 s3, exec_lo
	v_cmpx_gt_f32_e32 v62, v65
; %bb.135:
	v_mov_b32_e32 v65, v62
; %bb.136:
	s_or_b32 exec_lo, exec_lo, s3
	s_delay_alu instid0(VALU_DEP_1)
	v_mov_b32_e32 v4, v65
	v_mov_b32_e32 v64, v66
.LBB11_137:
	s_or_b32 exec_lo, exec_lo, s2
	v_lshrrev_b32_e32 v5, 16, v5
	s_mov_b32 s2, exec_lo
	s_delay_alu instid0(VALU_DEP_1) | instskip(NEXT) | instid1(VALU_DEP_1)
	v_cvt_f32_f16_e32 v5, v5
	v_add_f32_e32 v63, v46, v5
	s_delay_alu instid0(VALU_DEP_1)
	v_dual_mov_b32 v65, v64 :: v_dual_mov_b32 v66, v63
	v_cmpx_ngt_f32_e32 v63, v64
	s_cbranch_execz .LBB11_141
; %bb.138:
	s_mov_b32 s3, exec_lo
	v_cmpx_gt_f32_e32 v63, v4
; %bb.139:
	v_mov_b32_e32 v4, v63
; %bb.140:
	s_or_b32 exec_lo, exec_lo, s3
	s_delay_alu instid0(VALU_DEP_1)
	v_mov_b32_e32 v65, v4
	v_mov_b32_e32 v66, v64
.LBB11_141:
	s_or_b32 exec_lo, exec_lo, s2
	v_cvt_f32_f16_e32 v4, v6
	s_mov_b32 s2, exec_lo
	s_delay_alu instid0(VALU_DEP_1) | instskip(NEXT) | instid1(VALU_DEP_1)
	v_add_f32_e32 v64, v21, v4
	v_dual_mov_b32 v4, v66 :: v_dual_mov_b32 v5, v64
	v_cmpx_ngt_f32_e32 v64, v66
	s_cbranch_execz .LBB11_145
; %bb.142:
	s_mov_b32 s3, exec_lo
	v_cmpx_gt_f32_e32 v64, v65
; %bb.143:
	v_mov_b32_e32 v65, v64
; %bb.144:
	s_or_b32 exec_lo, exec_lo, s3
	s_delay_alu instid0(VALU_DEP_1)
	v_dual_mov_b32 v4, v65 :: v_dual_mov_b32 v5, v66
.LBB11_145:
	s_or_b32 exec_lo, exec_lo, s2
	v_lshrrev_b32_e32 v6, 16, v6
	s_mov_b32 s2, exec_lo
	s_delay_alu instid0(VALU_DEP_1) | instskip(NEXT) | instid1(VALU_DEP_1)
	v_cvt_f32_f16_e32 v6, v6
	v_add_f32_e32 v6, v47, v6
	s_delay_alu instid0(VALU_DEP_1)
	v_dual_mov_b32 v66, v5 :: v_dual_mov_b32 v67, v6
	v_cmpx_ngt_f32_e32 v6, v5
	s_cbranch_execz .LBB11_149
; %bb.146:
	s_mov_b32 s3, exec_lo
	v_cmpx_gt_f32_e32 v6, v4
; %bb.147:
	v_mov_b32_e32 v4, v6
; %bb.148:
	s_or_b32 exec_lo, exec_lo, s3
	s_delay_alu instid0(VALU_DEP_1)
	v_dual_mov_b32 v66, v4 :: v_dual_mov_b32 v67, v5
.LBB11_149:
	s_or_b32 exec_lo, exec_lo, s2
	v_cvt_f32_f16_e32 v4, v7
	s_mov_b32 s2, exec_lo
	s_delay_alu instid0(VALU_DEP_1) | instskip(NEXT) | instid1(VALU_DEP_1)
	v_dual_add_f32 v65, v22, v4 :: v_dual_mov_b32 v4, v67
	v_mov_b32_e32 v5, v65
	v_cmpx_ngt_f32_e32 v65, v67
	s_cbranch_execz .LBB11_153
; %bb.150:
	s_mov_b32 s3, exec_lo
	v_cmpx_gt_f32_e32 v65, v66
; %bb.151:
	v_mov_b32_e32 v66, v65
; %bb.152:
	s_or_b32 exec_lo, exec_lo, s3
	s_delay_alu instid0(VALU_DEP_1)
	v_dual_mov_b32 v4, v66 :: v_dual_mov_b32 v5, v67
.LBB11_153:
	s_or_b32 exec_lo, exec_lo, s2
	v_lshrrev_b32_e32 v7, 16, v7
	s_mov_b32 s2, exec_lo
	s_delay_alu instid0(VALU_DEP_1) | instskip(NEXT) | instid1(VALU_DEP_1)
	v_cvt_f32_f16_e32 v7, v7
	v_add_f32_e32 v7, v48, v7
	s_delay_alu instid0(VALU_DEP_1)
	v_dual_mov_b32 v67, v5 :: v_dual_mov_b32 v68, v7
	v_cmpx_ngt_f32_e32 v7, v5
	s_cbranch_execz .LBB11_157
; %bb.154:
	s_mov_b32 s3, exec_lo
	v_cmpx_gt_f32_e32 v7, v4
; %bb.155:
	v_mov_b32_e32 v4, v7
; %bb.156:
	s_or_b32 exec_lo, exec_lo, s3
	s_delay_alu instid0(VALU_DEP_1)
	v_dual_mov_b32 v67, v4 :: v_dual_mov_b32 v68, v5
.LBB11_157:
	s_or_b32 exec_lo, exec_lo, s2
	v_cvt_f32_f16_e32 v4, v0
	s_mov_b32 s2, exec_lo
	s_delay_alu instid0(VALU_DEP_1) | instskip(NEXT) | instid1(VALU_DEP_1)
	v_add_f32_e32 v66, v23, v4
	v_dual_mov_b32 v4, v68 :: v_dual_mov_b32 v5, v66
	v_cmpx_ngt_f32_e32 v66, v68
	s_cbranch_execz .LBB11_161
; %bb.158:
	s_mov_b32 s3, exec_lo
	v_cmpx_gt_f32_e32 v66, v67
; %bb.159:
	v_mov_b32_e32 v67, v66
; %bb.160:
	s_or_b32 exec_lo, exec_lo, s3
	s_delay_alu instid0(VALU_DEP_1)
	v_dual_mov_b32 v4, v67 :: v_dual_mov_b32 v5, v68
.LBB11_161:
	s_or_b32 exec_lo, exec_lo, s2
	v_lshrrev_b32_e32 v0, 16, v0
	s_mov_b32 s2, exec_lo
	s_delay_alu instid0(VALU_DEP_1) | instskip(NEXT) | instid1(VALU_DEP_1)
	v_cvt_f32_f16_e32 v0, v0
	v_add_f32_e32 v67, v49, v0
	s_delay_alu instid0(VALU_DEP_1)
	v_dual_mov_b32 v69, v5 :: v_dual_mov_b32 v70, v67
	v_cmpx_ngt_f32_e32 v67, v5
	s_cbranch_execz .LBB11_165
; %bb.162:
	s_mov_b32 s3, exec_lo
	v_cmpx_gt_f32_e32 v67, v4
; %bb.163:
	v_mov_b32_e32 v4, v67
; %bb.164:
	s_or_b32 exec_lo, exec_lo, s3
	s_delay_alu instid0(VALU_DEP_1)
	v_dual_mov_b32 v69, v4 :: v_dual_mov_b32 v70, v5
.LBB11_165:
	s_or_b32 exec_lo, exec_lo, s2
	v_cvt_f32_f16_e32 v0, v1
	s_mov_b32 s2, exec_lo
	s_delay_alu instid0(VALU_DEP_1) | instskip(SKIP_1) | instid1(VALU_DEP_2)
	v_add_f32_e32 v68, v16, v0
	v_mov_b32_e32 v0, v70
	v_mov_b32_e32 v4, v68
	v_cmpx_ngt_f32_e32 v68, v70
	s_cbranch_execz .LBB11_169
; %bb.166:
	s_mov_b32 s3, exec_lo
	v_cmpx_gt_f32_e32 v68, v69
; %bb.167:
	v_mov_b32_e32 v69, v68
; %bb.168:
	s_or_b32 exec_lo, exec_lo, s3
	s_delay_alu instid0(VALU_DEP_1)
	v_mov_b32_e32 v0, v69
	v_mov_b32_e32 v4, v70
.LBB11_169:
	s_or_b32 exec_lo, exec_lo, s2
	v_lshrrev_b32_e32 v1, 16, v1
	s_delay_alu instid0(VALU_DEP_2) | instskip(SKIP_1) | instid1(VALU_DEP_2)
	v_mov_b32_e32 v5, v4
	s_mov_b32 s2, exec_lo
	v_cvt_f32_f16_e32 v1, v1
	s_delay_alu instid0(VALU_DEP_1) | instskip(NEXT) | instid1(VALU_DEP_1)
	v_add_f32_e32 v69, v50, v1
	v_mov_b32_e32 v71, v69
	v_cmpx_ngt_f32_e32 v69, v4
	s_cbranch_execz .LBB11_173
; %bb.170:
	s_mov_b32 s3, exec_lo
	v_cmpx_gt_f32_e32 v69, v0
; %bb.171:
	v_mov_b32_e32 v0, v69
; %bb.172:
	s_or_b32 exec_lo, exec_lo, s3
	s_delay_alu instid0(VALU_DEP_1)
	v_mov_b32_e32 v5, v0
	v_mov_b32_e32 v71, v4
.LBB11_173:
	s_or_b32 exec_lo, exec_lo, s2
	v_cvt_f32_f16_e32 v0, v2
	s_mov_b32 s2, exec_lo
	s_delay_alu instid0(VALU_DEP_1) | instskip(NEXT) | instid1(VALU_DEP_1)
	v_add_f32_e32 v70, v17, v0
	v_dual_mov_b32 v0, v71 :: v_dual_mov_b32 v1, v70
	v_cmpx_ngt_f32_e32 v70, v71
	s_cbranch_execz .LBB11_177
; %bb.174:
	s_mov_b32 s3, exec_lo
	v_cmpx_gt_f32_e32 v70, v5
; %bb.175:
	v_mov_b32_e32 v5, v70
; %bb.176:
	s_or_b32 exec_lo, exec_lo, s3
	s_delay_alu instid0(VALU_DEP_1)
	v_dual_mov_b32 v0, v5 :: v_dual_mov_b32 v1, v71
.LBB11_177:
	s_or_b32 exec_lo, exec_lo, s2
	v_lshrrev_b32_e32 v2, 16, v2
	s_mov_b32 s2, exec_lo
	s_delay_alu instid0(VALU_DEP_1) | instskip(NEXT) | instid1(VALU_DEP_1)
	v_cvt_f32_f16_e32 v2, v2
	v_dual_add_f32 v71, v51, v2 :: v_dual_mov_b32 v2, v1
	s_delay_alu instid0(VALU_DEP_1)
	v_mov_b32_e32 v4, v71
	v_cmpx_ngt_f32_e32 v71, v1
	s_cbranch_execz .LBB11_181
; %bb.178:
	s_mov_b32 s3, exec_lo
	v_cmpx_gt_f32_e32 v71, v0
; %bb.179:
	v_mov_b32_e32 v0, v71
; %bb.180:
	s_or_b32 exec_lo, exec_lo, s3
	s_delay_alu instid0(VALU_DEP_1)
	v_mov_b32_e32 v2, v0
	v_mov_b32_e32 v4, v1
.LBB11_181:
	s_or_b32 exec_lo, exec_lo, s2
	v_cvt_f32_f16_e32 v0, v3
	s_mov_b32 s2, exec_lo
	s_delay_alu instid0(VALU_DEP_1) | instskip(SKIP_1) | instid1(VALU_DEP_2)
	v_add_f32_e32 v72, v18, v0
	v_mov_b32_e32 v0, v4
	v_mov_b32_e32 v1, v72
	v_cmpx_ngt_f32_e32 v72, v4
	s_cbranch_execz .LBB11_185
; %bb.182:
	s_mov_b32 s3, exec_lo
	v_cmpx_gt_f32_e32 v72, v2
; %bb.183:
	v_mov_b32_e32 v2, v72
; %bb.184:
	s_or_b32 exec_lo, exec_lo, s3
	s_delay_alu instid0(VALU_DEP_1)
	v_dual_mov_b32 v0, v2 :: v_dual_mov_b32 v1, v4
.LBB11_185:
	s_or_b32 exec_lo, exec_lo, s2
	v_lshrrev_b32_e32 v2, 16, v3
	s_mov_b32 s2, exec_lo
	s_delay_alu instid0(VALU_DEP_1) | instskip(NEXT) | instid1(VALU_DEP_1)
	v_cvt_f32_f16_e32 v2, v2
	v_dual_add_f32 v73, v19, v2 :: v_dual_mov_b32 v2, v1
	s_delay_alu instid0(VALU_DEP_1)
	v_mov_b32_e32 v3, v73
	v_cmpx_ngt_f32_e32 v73, v1
	s_cbranch_execz .LBB11_189
; %bb.186:
	s_mov_b32 s3, exec_lo
	v_cmpx_gt_f32_e32 v73, v0
; %bb.187:
	v_mov_b32_e32 v0, v73
; %bb.188:
	s_or_b32 exec_lo, exec_lo, s3
	s_delay_alu instid0(VALU_DEP_1)
	v_dual_mov_b32 v2, v0 :: v_dual_mov_b32 v3, v1
.LBB11_189:
	s_or_b32 exec_lo, exec_lo, s2
	v_cmp_lt_i64_e64 s2, s[46:47], 4
	v_lshlrev_b32_e32 v74, 5, v34
	s_delay_alu instid0(VALU_DEP_2)
	s_and_b32 vcc_lo, exec_lo, s2
	s_cbranch_vccz .LBB11_192
; %bb.190:
	v_add_f32_e32 v0, v2, v3
	s_sub_u32 s4, 4, s46
	s_subb_u32 s5, 0, s47
	s_mov_b64 s[6:7], 0
	s_set_inst_prefetch_distance 0x1
	.p2align	6
.LBB11_191:                             ; =>This Inner Loop Header: Depth=1
	s_delay_alu instid0(VALU_DEP_1) | instskip(SKIP_1) | instid1(VALU_DEP_2)
	v_mov_b32_dpp v1, v0 quad_perm:[1,0,3,2] row_mask:0xf bank_mask:0xf
	v_mov_b32_dpp v2, v74 quad_perm:[1,0,3,2] row_mask:0xf bank_mask:0xf
	v_cmp_eq_f32_e32 vcc_lo, v0, v1
	s_delay_alu instid0(VALU_DEP_2) | instskip(SKIP_1) | instid1(VALU_DEP_2)
	v_cmp_lt_i32_e64 s2, v74, v2
	v_cmp_lt_f32_e64 s3, v0, v1
	s_and_b32 s2, s2, vcc_lo
	s_delay_alu instid0(VALU_DEP_1) | instid1(SALU_CYCLE_1)
	s_or_b32 vcc_lo, s3, s2
	s_add_u32 s6, s6, 1
	v_dual_cndmask_b32 v1, v1, v0 :: v_dual_cndmask_b32 v2, v2, v74
	s_addc_u32 s7, s7, 0
	s_delay_alu instid0(SALU_CYCLE_1) | instskip(NEXT) | instid1(VALU_DEP_2)
	v_cmp_le_i64_e64 s2, s[4:5], s[6:7]
	v_mov_b32_dpp v4, v1 quad_perm:[2,3,0,1] row_mask:0xf bank_mask:0xf
	s_delay_alu instid0(VALU_DEP_3) | instskip(NEXT) | instid1(VALU_DEP_2)
	v_mov_b32_dpp v3, v2 quad_perm:[2,3,0,1] row_mask:0xf bank_mask:0xf
	v_cmp_eq_f32_e32 vcc_lo, v1, v4
	s_delay_alu instid0(VALU_DEP_2) | instskip(NEXT) | instid1(VALU_DEP_1)
	v_min_i32_e32 v5, v2, v3
	v_cndmask_b32_e32 v3, v3, v5, vcc_lo
	v_cmp_lt_f32_e32 vcc_lo, v1, v4
	s_delay_alu instid0(VALU_DEP_2) | instskip(NEXT) | instid1(VALU_DEP_1)
	v_cndmask_b32_e32 v1, v3, v2, vcc_lo
	v_ashrrev_i32_e32 v2, 31, v1
	s_delay_alu instid0(VALU_DEP_1) | instskip(NEXT) | instid1(VALU_DEP_1)
	v_lshrrev_b32_e32 v2, 27, v2
	v_add_nc_u32_e32 v1, v1, v2
	s_delay_alu instid0(VALU_DEP_1) | instskip(NEXT) | instid1(VALU_DEP_1)
	v_ashrrev_i32_e32 v1, 5, v1
	v_cmp_eq_u32_e32 vcc_lo, v34, v1
	v_cndmask_b32_e64 v12, v12, 0x7f7fffff, vcc_lo
	v_cndmask_b32_e64 v0, v0, 0x7f7fffff, vcc_lo
	s_and_b32 vcc_lo, exec_lo, s2
	s_cbranch_vccz .LBB11_191
.LBB11_192:
	s_set_inst_prefetch_distance 0x2
	s_sub_u32 s36, s48, s50
	s_subb_u32 s37, s49, s51
	s_mov_b64 s[2:3], src_shared_base
	s_cmp_lg_u32 0, -1
	v_and_b32_e32 v4, 0x3fc, v41
	s_cselect_b32 s2, s3, 0
	s_cselect_b32 s3, 0, 0
	s_load_b32 s35, s[0:1], 0x48
	s_add_u32 s4, s3, 0xff
	s_addc_u32 s3, s2, 0
	s_and_b32 s2, s4, 0xffffff00
	s_delay_alu instid0(SALU_CYCLE_1) | instskip(SKIP_1) | instid1(VALU_DEP_1)
	v_mad_u64_u32 v[0:1], null, v4, s48, s[2:3]
	v_cmp_lt_i64_e64 s2, s[36:37], 1
	s_and_b32 vcc_lo, exec_lo, s2
	s_delay_alu instid0(VALU_DEP_2) | instskip(SKIP_1) | instid1(VALU_DEP_2)
	v_mad_u64_u32 v[2:3], null, v4, s49, v[1:2]
	v_cmp_eq_u32_e64 s2, 0, v34
	v_mov_b32_e32 v1, v2
	s_cbranch_vccnz .LBB11_203
; %bb.193:
	s_waitcnt lgkmcnt(0)
	v_mad_u64_u32 v[2:3], null, s35, v32, 0
	s_ashr_i32 s3, s35, 31
	v_mul_u32_u24_e32 v75, 32, v34
	v_mov_b32_e32 v41, 0
	s_mov_b64 s[38:39], 0
	s_delay_alu instid0(VALU_DEP_3) | instskip(NEXT) | instid1(VALU_DEP_1)
	v_mad_u64_u32 v[4:5], null, s3, v32, v[3:4]
	v_mov_b32_e32 v3, v4
	v_dual_mov_b32 v5, v1 :: v_dual_mov_b32 v4, v0
	s_delay_alu instid0(VALU_DEP_2) | instskip(NEXT) | instid1(VALU_DEP_1)
	v_lshlrev_b64 v[2:3], 2, v[2:3]
	v_add_co_u32 v2, vcc_lo, s42, v2
	s_delay_alu instid0(VALU_DEP_2)
	v_add_co_ci_u32_e32 v3, vcc_lo, s43, v3, vcc_lo
	s_branch .LBB11_195
.LBB11_194:                             ;   in Loop: Header=BB11_195 Depth=1
	s_or_b32 exec_lo, exec_lo, s3
	s_add_u32 s38, s38, 1
	s_addc_u32 s39, s39, 0
	v_add_co_u32 v2, vcc_lo, v2, 4
	v_cmp_le_i64_e64 s3, s[36:37], s[38:39]
	v_add_co_ci_u32_e32 v3, vcc_lo, 0, v3, vcc_lo
	v_add_co_u32 v4, vcc_lo, v4, 4
	v_add_co_ci_u32_e32 v5, vcc_lo, 0, v5, vcc_lo
	s_delay_alu instid0(VALU_DEP_4)
	s_and_b32 vcc_lo, exec_lo, s3
	s_cbranch_vccnz .LBB11_204
.LBB11_195:                             ; =>This Inner Loop Header: Depth=1
	v_dual_mov_b32 v76, 0xff7fffff :: v_dual_mov_b32 v77, v74
	s_mov_b32 s3, exec_lo
	v_cmpx_neq_f32_e32 0x7f7fffff, v12
	s_cbranch_execz .LBB11_197
; %bb.196:                              ;   in Loop: Header=BB11_195 Depth=1
	v_cmp_gt_f32_e32 vcc_lo, v52, v12
	v_cndmask_b32_e32 v76, v12, v52, vcc_lo
	v_cndmask_b32_e64 v77, 0, 1, vcc_lo
	s_delay_alu instid0(VALU_DEP_2) | instskip(SKIP_1) | instid1(VALU_DEP_3)
	v_cmp_gt_f32_e32 vcc_lo, v53, v76
	v_cndmask_b32_e32 v76, v76, v53, vcc_lo
	v_cndmask_b32_e64 v77, v77, 2, vcc_lo
	s_delay_alu instid0(VALU_DEP_2) | instskip(SKIP_1) | instid1(VALU_DEP_3)
	v_cmp_gt_f32_e32 vcc_lo, v13, v76
	v_cndmask_b32_e32 v76, v76, v13, vcc_lo
	v_cndmask_b32_e64 v77, v77, 3, vcc_lo
	s_delay_alu instid0(VALU_DEP_2) | instskip(SKIP_1) | instid1(VALU_DEP_3)
	v_cmp_gt_f32_e32 vcc_lo, v54, v76
	v_cndmask_b32_e32 v76, v76, v54, vcc_lo
	v_cndmask_b32_e64 v77, v77, 4, vcc_lo
	s_delay_alu instid0(VALU_DEP_2) | instskip(SKIP_1) | instid1(VALU_DEP_3)
	v_cmp_gt_f32_e32 vcc_lo, v14, v76
	v_cndmask_b32_e32 v76, v76, v14, vcc_lo
	v_cndmask_b32_e64 v77, v77, 5, vcc_lo
	s_delay_alu instid0(VALU_DEP_2) | instskip(SKIP_1) | instid1(VALU_DEP_3)
	v_cmp_gt_f32_e32 vcc_lo, v55, v76
	v_cndmask_b32_e32 v76, v76, v55, vcc_lo
	v_cndmask_b32_e64 v77, v77, 6, vcc_lo
	s_delay_alu instid0(VALU_DEP_2) | instskip(SKIP_1) | instid1(VALU_DEP_3)
	v_cmp_gt_f32_e32 vcc_lo, v15, v76
	v_cndmask_b32_e32 v76, v76, v15, vcc_lo
	v_cndmask_b32_e64 v77, v77, 7, vcc_lo
	s_delay_alu instid0(VALU_DEP_2) | instskip(SKIP_1) | instid1(VALU_DEP_3)
	v_cmp_gt_f32_e32 vcc_lo, v56, v76
	v_cndmask_b32_e32 v76, v76, v56, vcc_lo
	v_cndmask_b32_e64 v77, v77, 8, vcc_lo
	s_delay_alu instid0(VALU_DEP_2) | instskip(SKIP_1) | instid1(VALU_DEP_3)
	v_cmp_gt_f32_e32 vcc_lo, v8, v76
	v_cndmask_b32_e32 v76, v76, v8, vcc_lo
	v_cndmask_b32_e64 v77, v77, 9, vcc_lo
	s_delay_alu instid0(VALU_DEP_2) | instskip(SKIP_1) | instid1(VALU_DEP_3)
	v_cmp_gt_f32_e32 vcc_lo, v57, v76
	v_cndmask_b32_e32 v76, v76, v57, vcc_lo
	v_cndmask_b32_e64 v77, v77, 10, vcc_lo
	s_delay_alu instid0(VALU_DEP_2) | instskip(SKIP_1) | instid1(VALU_DEP_3)
	v_cmp_gt_f32_e32 vcc_lo, v9, v76
	v_cndmask_b32_e32 v76, v76, v9, vcc_lo
	v_cndmask_b32_e64 v77, v77, 11, vcc_lo
	s_delay_alu instid0(VALU_DEP_2) | instskip(SKIP_1) | instid1(VALU_DEP_3)
	v_cmp_gt_f32_e32 vcc_lo, v58, v76
	v_cndmask_b32_e32 v76, v76, v58, vcc_lo
	v_cndmask_b32_e64 v77, v77, 12, vcc_lo
	s_delay_alu instid0(VALU_DEP_2) | instskip(SKIP_1) | instid1(VALU_DEP_3)
	v_cmp_gt_f32_e32 vcc_lo, v10, v76
	v_cndmask_b32_e32 v76, v76, v10, vcc_lo
	v_cndmask_b32_e64 v77, v77, 13, vcc_lo
	s_delay_alu instid0(VALU_DEP_2) | instskip(SKIP_1) | instid1(VALU_DEP_3)
	v_cmp_gt_f32_e32 vcc_lo, v59, v76
	v_cndmask_b32_e32 v76, v76, v59, vcc_lo
	v_cndmask_b32_e64 v77, v77, 14, vcc_lo
	s_delay_alu instid0(VALU_DEP_2) | instskip(SKIP_1) | instid1(VALU_DEP_3)
	v_cmp_gt_f32_e32 vcc_lo, v11, v76
	v_cndmask_b32_e32 v76, v76, v11, vcc_lo
	v_cndmask_b32_e64 v77, v77, 15, vcc_lo
	s_delay_alu instid0(VALU_DEP_2) | instskip(SKIP_1) | instid1(VALU_DEP_3)
	v_cmp_gt_f32_e32 vcc_lo, v60, v76
	v_cndmask_b32_e32 v76, v76, v60, vcc_lo
	v_cndmask_b32_e64 v77, v77, 16, vcc_lo
	s_delay_alu instid0(VALU_DEP_2) | instskip(SKIP_1) | instid1(VALU_DEP_3)
	v_cmp_gt_f32_e32 vcc_lo, v61, v76
	v_cndmask_b32_e32 v76, v76, v61, vcc_lo
	v_cndmask_b32_e64 v77, v77, 17, vcc_lo
	s_delay_alu instid0(VALU_DEP_2) | instskip(SKIP_1) | instid1(VALU_DEP_3)
	v_cmp_gt_f32_e32 vcc_lo, v62, v76
	v_cndmask_b32_e32 v76, v76, v62, vcc_lo
	v_cndmask_b32_e64 v77, v77, 18, vcc_lo
	s_delay_alu instid0(VALU_DEP_2) | instskip(SKIP_1) | instid1(VALU_DEP_3)
	v_cmp_gt_f32_e32 vcc_lo, v63, v76
	v_cndmask_b32_e32 v76, v76, v63, vcc_lo
	v_cndmask_b32_e64 v77, v77, 19, vcc_lo
	s_delay_alu instid0(VALU_DEP_2) | instskip(SKIP_1) | instid1(VALU_DEP_3)
	v_cmp_gt_f32_e32 vcc_lo, v64, v76
	v_cndmask_b32_e32 v76, v76, v64, vcc_lo
	v_cndmask_b32_e64 v77, v77, 20, vcc_lo
	s_delay_alu instid0(VALU_DEP_2) | instskip(SKIP_1) | instid1(VALU_DEP_3)
	v_cmp_gt_f32_e32 vcc_lo, v6, v76
	v_cndmask_b32_e32 v76, v76, v6, vcc_lo
	v_cndmask_b32_e64 v77, v77, 21, vcc_lo
	s_delay_alu instid0(VALU_DEP_2) | instskip(SKIP_1) | instid1(VALU_DEP_3)
	v_cmp_gt_f32_e32 vcc_lo, v65, v76
	v_cndmask_b32_e32 v76, v76, v65, vcc_lo
	v_cndmask_b32_e64 v77, v77, 22, vcc_lo
	s_delay_alu instid0(VALU_DEP_2) | instskip(SKIP_1) | instid1(VALU_DEP_3)
	v_cmp_gt_f32_e32 vcc_lo, v7, v76
	v_cndmask_b32_e32 v76, v76, v7, vcc_lo
	v_cndmask_b32_e64 v77, v77, 23, vcc_lo
	s_delay_alu instid0(VALU_DEP_2) | instskip(SKIP_1) | instid1(VALU_DEP_3)
	v_cmp_gt_f32_e32 vcc_lo, v66, v76
	v_cndmask_b32_e32 v76, v76, v66, vcc_lo
	v_cndmask_b32_e64 v77, v77, 24, vcc_lo
	s_delay_alu instid0(VALU_DEP_2) | instskip(SKIP_1) | instid1(VALU_DEP_3)
	v_cmp_gt_f32_e32 vcc_lo, v67, v76
	v_cndmask_b32_e32 v76, v76, v67, vcc_lo
	v_cndmask_b32_e64 v77, v77, 25, vcc_lo
	s_delay_alu instid0(VALU_DEP_2) | instskip(SKIP_1) | instid1(VALU_DEP_3)
	v_cmp_gt_f32_e32 vcc_lo, v68, v76
	v_cndmask_b32_e32 v76, v76, v68, vcc_lo
	v_cndmask_b32_e64 v77, v77, 26, vcc_lo
	s_delay_alu instid0(VALU_DEP_2) | instskip(SKIP_1) | instid1(VALU_DEP_3)
	v_cmp_gt_f32_e32 vcc_lo, v69, v76
	v_cndmask_b32_e32 v76, v76, v69, vcc_lo
	v_cndmask_b32_e64 v77, v77, 27, vcc_lo
	s_delay_alu instid0(VALU_DEP_2) | instskip(SKIP_1) | instid1(VALU_DEP_3)
	v_cmp_gt_f32_e32 vcc_lo, v70, v76
	v_cndmask_b32_e32 v76, v76, v70, vcc_lo
	v_cndmask_b32_e64 v77, v77, 28, vcc_lo
	s_delay_alu instid0(VALU_DEP_2) | instskip(SKIP_1) | instid1(VALU_DEP_3)
	v_cmp_gt_f32_e32 vcc_lo, v71, v76
	v_cndmask_b32_e32 v76, v76, v71, vcc_lo
	v_cndmask_b32_e64 v77, v77, 29, vcc_lo
	s_delay_alu instid0(VALU_DEP_2) | instskip(SKIP_1) | instid1(VALU_DEP_3)
	v_cmp_gt_f32_e32 vcc_lo, v72, v76
	v_cndmask_b32_e32 v76, v76, v72, vcc_lo
	v_cndmask_b32_e64 v77, v77, 30, vcc_lo
	s_delay_alu instid0(VALU_DEP_2) | instskip(NEXT) | instid1(VALU_DEP_2)
	v_cmp_gt_f32_e32 vcc_lo, v73, v76
	v_cndmask_b32_e64 v77, v77, 31, vcc_lo
	v_cndmask_b32_e32 v76, v76, v73, vcc_lo
	s_delay_alu instid0(VALU_DEP_2)
	v_or_b32_e32 v77, v77, v74
.LBB11_197:                             ;   in Loop: Header=BB11_195 Depth=1
	s_or_b32 exec_lo, exec_lo, s3
	s_delay_alu instid0(VALU_DEP_2) | instskip(NEXT) | instid1(VALU_DEP_2)
	v_mov_b32_dpp v78, v76 quad_perm:[1,0,3,2] row_mask:0xf bank_mask:0xf
	v_mov_b32_dpp v79, v77 quad_perm:[1,0,3,2] row_mask:0xf bank_mask:0xf
	s_mov_b32 s44, exec_lo
	s_delay_alu instid0(VALU_DEP_2) | instskip(NEXT) | instid1(VALU_DEP_2)
	v_cmp_eq_f32_e32 vcc_lo, v76, v78
	v_cmp_lt_i32_e64 s3, v77, v79
	v_cmp_gt_f32_e64 s4, v76, v78
	s_delay_alu instid0(VALU_DEP_2)
	s_and_b32 s3, vcc_lo, s3
	s_delay_alu instid0(VALU_DEP_1) | instid1(SALU_CYCLE_1)
	s_or_b32 vcc_lo, s4, s3
	v_dual_cndmask_b32 v76, v78, v76 :: v_dual_cndmask_b32 v77, v79, v77
	s_delay_alu instid0(VALU_DEP_1) | instskip(NEXT) | instid1(VALU_DEP_2)
	v_mov_b32_dpp v79, v76 quad_perm:[2,3,0,1] row_mask:0xf bank_mask:0xf
	v_mov_b32_dpp v78, v77 quad_perm:[2,3,0,1] row_mask:0xf bank_mask:0xf
	s_delay_alu instid0(VALU_DEP_2) | instskip(NEXT) | instid1(VALU_DEP_2)
	v_cmp_eq_f32_e32 vcc_lo, v76, v79
	v_min_i32_e32 v80, v77, v78
	s_delay_alu instid0(VALU_DEP_1) | instskip(SKIP_1) | instid1(VALU_DEP_2)
	v_cndmask_b32_e32 v78, v78, v80, vcc_lo
	v_cmp_gt_f32_e32 vcc_lo, v76, v79
	v_cndmask_b32_e32 v76, v78, v77, vcc_lo
	s_delay_alu instid0(VALU_DEP_1) | instskip(NEXT) | instid1(VALU_DEP_1)
	v_ashrrev_i32_e32 v77, 31, v76
	v_lshrrev_b32_e32 v77, 27, v77
	s_delay_alu instid0(VALU_DEP_1) | instskip(NEXT) | instid1(VALU_DEP_1)
	v_add_nc_u32_e32 v77, v76, v77
	v_ashrrev_i32_e32 v77, 5, v77
	s_delay_alu instid0(VALU_DEP_1)
	v_cmpx_eq_u32_e64 v34, v77
	s_cbranch_execz .LBB11_201
; %bb.198:                              ;   in Loop: Header=BB11_195 Depth=1
	v_sub_nc_u32_e32 v77, v76, v75
	s_mov_b32 s45, exec_lo
	s_delay_alu instid0(VALU_DEP_1)
	v_cmp_eq_u32_e32 vcc_lo, 1, v77
	v_cmp_eq_u32_e64 s3, 2, v77
	v_cmp_eq_u32_e64 s4, 3, v77
	;; [unrolled: 1-line block ×30, first 2 shown]
	v_cmpx_gt_u32_e32 32, v77
	s_cbranch_execz .LBB11_200
; %bb.199:                              ;   in Loop: Header=BB11_195 Depth=1
	v_cndmask_b32_e32 v78, v35, v36, vcc_lo
	s_delay_alu instid0(VALU_DEP_1) | instskip(NEXT) | instid1(VALU_DEP_1)
	v_cndmask_b32_e64 v78, v78, v28, s3
	v_cndmask_b32_e64 v78, v78, v37, s4
	s_delay_alu instid0(VALU_DEP_1) | instskip(NEXT) | instid1(VALU_DEP_1)
	v_cndmask_b32_e64 v78, v78, v29, s5
	v_cndmask_b32_e64 v78, v78, v38, s6
	;; [unrolled: 3-line block ×15, first 2 shown]
	flat_store_b32 v[4:5], v78
.LBB11_200:                             ;   in Loop: Header=BB11_195 Depth=1
	s_or_b32 exec_lo, exec_lo, s45
	v_cmp_ne_u32_e64 s34, 0, v77
	v_cndmask_b32_e64 v52, v52, 0xff7fffff, vcc_lo
	v_cndmask_b32_e64 v53, v53, 0xff7fffff, s3
	v_cndmask_b32_e64 v13, v13, 0xff7fffff, s4
	;; [unrolled: 1-line block ×31, first 2 shown]
	global_store_b32 v[2:3], v76, off
.LBB11_201:                             ;   in Loop: Header=BB11_195 Depth=1
	s_or_b32 exec_lo, exec_lo, s44
	s_waitcnt lgkmcnt(0)
	s_waitcnt_vscnt null, 0x0
	s_barrier
	buffer_gl0_inv
	s_and_saveexec_b32 s3, s2
	s_cbranch_execz .LBB11_194
; %bb.202:                              ;   in Loop: Header=BB11_195 Depth=1
	flat_load_b32 v76, v[4:5]
	s_waitcnt vmcnt(0) lgkmcnt(0)
	v_add_f32_e32 v41, v41, v76
	s_branch .LBB11_194
.LBB11_203:
	v_mov_b32_e32 v41, 0
.LBB11_204:
	v_cmp_gt_i64_e64 s3, s[50:51], 0
	v_cmp_eq_u32_e64 s2, 0, v34
	s_delay_alu instid0(VALU_DEP_1) | instskip(NEXT) | instid1(SALU_CYCLE_1)
	s_and_b32 s4, s2, s3
	s_and_saveexec_b32 s3, s4
	s_cbranch_execz .LBB11_210
; %bb.205:
	v_dual_mov_b32 v2, v32 :: v_dual_mov_b32 v3, v33
	s_mov_b32 s4, exec_lo
	v_cmpx_le_u64_e64 s[50:51], v[32:33]
	s_cbranch_execz .LBB11_207
; %bb.206:
	v_cvt_f32_u32_e32 v2, s50
	s_sub_i32 s5, 0, s50
	s_delay_alu instid0(VALU_DEP_1) | instskip(SKIP_2) | instid1(VALU_DEP_1)
	v_rcp_iflag_f32_e32 v2, v2
	s_waitcnt_depctr 0xfff
	v_mul_f32_e32 v2, 0x4f7ffffe, v2
	v_cvt_u32_f32_e32 v2, v2
	s_delay_alu instid0(VALU_DEP_1) | instskip(NEXT) | instid1(VALU_DEP_1)
	v_mul_lo_u32 v3, s5, v2
	v_mul_hi_u32 v3, v2, v3
	s_delay_alu instid0(VALU_DEP_1) | instskip(NEXT) | instid1(VALU_DEP_1)
	v_add_nc_u32_e32 v2, v2, v3
	v_mul_hi_u32 v2, v32, v2
	s_delay_alu instid0(VALU_DEP_1) | instskip(NEXT) | instid1(VALU_DEP_1)
	v_mul_lo_u32 v2, v2, s50
	v_sub_nc_u32_e32 v2, v32, v2
	s_delay_alu instid0(VALU_DEP_1) | instskip(SKIP_1) | instid1(VALU_DEP_2)
	v_subrev_nc_u32_e32 v3, s50, v2
	v_cmp_le_u32_e32 vcc_lo, s50, v2
	v_cndmask_b32_e32 v2, v2, v3, vcc_lo
	s_delay_alu instid0(VALU_DEP_1) | instskip(SKIP_1) | instid1(VALU_DEP_2)
	v_subrev_nc_u32_e32 v3, s50, v2
	v_cmp_le_u32_e32 vcc_lo, s50, v2
	v_dual_cndmask_b32 v2, v2, v3 :: v_dual_mov_b32 v3, 0
.LBB11_207:
	s_or_b32 exec_lo, exec_lo, s4
	v_cvt_f64_f32_e32 v[4:5], v41
	s_load_b64 s[0:1], s[0:1], 0x40
	s_waitcnt lgkmcnt(0)
	s_delay_alu instid0(VALU_DEP_1) | instskip(SKIP_1) | instid1(VALU_DEP_2)
	v_div_scale_f64 v[6:7], null, s[0:1], s[0:1], v[4:5]
	v_div_scale_f64 v[12:13], vcc_lo, v[4:5], s[0:1], v[4:5]
	v_rcp_f64_e32 v[8:9], v[6:7]
	s_waitcnt_depctr 0xfff
	v_fma_f64 v[10:11], -v[6:7], v[8:9], 1.0
	s_delay_alu instid0(VALU_DEP_1) | instskip(NEXT) | instid1(VALU_DEP_1)
	v_fma_f64 v[8:9], v[8:9], v[10:11], v[8:9]
	v_fma_f64 v[10:11], -v[6:7], v[8:9], 1.0
	s_delay_alu instid0(VALU_DEP_1) | instskip(NEXT) | instid1(VALU_DEP_1)
	v_fma_f64 v[8:9], v[8:9], v[10:11], v[8:9]
	v_mul_f64 v[10:11], v[12:13], v[8:9]
	s_delay_alu instid0(VALU_DEP_1) | instskip(NEXT) | instid1(VALU_DEP_1)
	v_fma_f64 v[6:7], -v[6:7], v[10:11], v[12:13]
	v_div_fmas_f64 v[6:7], v[6:7], v[8:9], v[10:11]
	v_add_nc_u32_e32 v11, 0x80, v2
	s_delay_alu instid0(VALU_DEP_2) | instskip(SKIP_2) | instid1(VALU_DEP_2)
	v_div_fixup_f64 v[4:5], v[6:7], s[0:1], v[4:5]
	v_mad_u64_u32 v[6:7], null, s35, v32, s[36:37]
	s_ashr_i32 s0, s35, 31
	v_cvt_f32_f64_e32 v8, v[4:5]
	s_delay_alu instid0(VALU_DEP_2) | instskip(NEXT) | instid1(VALU_DEP_1)
	v_mov_b32_e32 v4, v7
	v_mad_u64_u32 v[9:10], null, s0, v32, v[4:5]
	v_cmp_lt_u64_e64 s0, s[50:51], 2
	s_delay_alu instid0(VALU_DEP_2) | instskip(NEXT) | instid1(VALU_DEP_1)
	v_mov_b32_e32 v7, v9
	v_lshlrev_b64 v[4:5], 2, v[6:7]
	s_delay_alu instid0(VALU_DEP_1) | instskip(NEXT) | instid1(VALU_DEP_2)
	v_add_co_u32 v6, vcc_lo, s42, v4
	v_add_co_ci_u32_e32 v7, vcc_lo, s43, v5, vcc_lo
	v_add_co_u32 v9, vcc_lo, s40, v4
	v_add_co_ci_u32_e32 v10, vcc_lo, s41, v5, vcc_lo
	s_and_b32 vcc_lo, exec_lo, s0
	global_store_b32 v[6:7], v11, off
	global_store_b32 v[9:10], v8, off
	s_cbranch_vccnz .LBB11_210
; %bb.208:
	v_add_co_u32 v6, vcc_lo, v4, 4
	v_add_co_ci_u32_e32 v7, vcc_lo, 0, v5, vcc_lo
	s_mov_b64 s[0:1], 1
	s_delay_alu instid0(VALU_DEP_2) | instskip(NEXT) | instid1(VALU_DEP_2)
	v_add_co_u32 v4, vcc_lo, s40, v6
	v_add_co_ci_u32_e32 v5, vcc_lo, s41, v7, vcc_lo
	v_add_co_u32 v6, vcc_lo, s42, v6
	v_add_co_ci_u32_e32 v7, vcc_lo, s43, v7, vcc_lo
	.p2align	6
.LBB11_209:                             ; =>This Inner Loop Header: Depth=1
	s_delay_alu instid0(VALU_DEP_2)
	v_add_co_u32 v9, vcc_lo, v2, 1
	v_add_co_ci_u32_e32 v10, vcc_lo, 0, v3, vcc_lo
	v_add_nc_u32_e32 v2, 0x81, v2
	s_add_u32 s0, s0, 1
	global_store_b32 v[4:5], v8, off
	v_add_co_u32 v4, vcc_lo, v4, 4
	s_addc_u32 s1, s1, 0
	v_add_co_ci_u32_e32 v5, vcc_lo, 0, v5, vcc_lo
	v_cmp_lt_u64_e64 s4, s[0:1], s[50:51]
	global_store_b32 v[6:7], v2, off
	v_add_co_u32 v6, vcc_lo, v6, 4
	v_dual_mov_b32 v2, v9 :: v_dual_mov_b32 v3, v10
	v_add_co_ci_u32_e32 v7, vcc_lo, 0, v7, vcc_lo
	s_and_b32 vcc_lo, exec_lo, s4
	s_cbranch_vccnz .LBB11_209
.LBB11_210:
	s_or_b32 exec_lo, exec_lo, s3
	v_cmp_gt_i64_e64 s3, s[48:49], 0
	s_mov_b64 s[0:1], 0
	s_waitcnt lgkmcnt(0)
	s_waitcnt_vscnt null, 0x0
	s_barrier
	buffer_gl0_inv
	s_and_b32 s2, s2, s3
	s_delay_alu instid0(SALU_CYCLE_1)
	s_and_b32 exec_lo, exec_lo, s2
	s_cbranch_execz .LBB11_217
; %bb.211:
	v_mad_u64_u32 v[2:3], null, s35, v32, 0
	s_ashr_i32 s2, s35, 31
	s_delay_alu instid0(VALU_DEP_1) | instid1(SALU_CYCLE_1)
	v_mad_u64_u32 v[4:5], null, s2, v32, v[3:4]
	v_cmp_lt_u64_e64 s2, s[48:49], 8
	s_delay_alu instid0(VALU_DEP_2) | instskip(NEXT) | instid1(VALU_DEP_1)
	v_mov_b32_e32 v3, v4
	v_lshlrev_b64 v[2:3], 2, v[2:3]
	s_delay_alu instid0(VALU_DEP_1) | instskip(NEXT) | instid1(VALU_DEP_2)
	v_add_co_u32 v2, vcc_lo, s40, v2
	v_add_co_ci_u32_e32 v3, vcc_lo, s41, v3, vcc_lo
	s_and_b32 vcc_lo, exec_lo, s2
	s_cbranch_vccnz .LBB11_214
; %bb.212:
	s_and_b32 s1, s49, 0x7fffffff
	s_and_b32 s0, s48, -8
	s_mov_b64 s[2:3], 0
	s_mov_b64 s[4:5], s[0:1]
.LBB11_213:                             ; =>This Inner Loop Header: Depth=1
	v_add_co_u32 v4, vcc_lo, v0, s2
	v_add_co_ci_u32_e32 v5, vcc_lo, s3, v1, vcc_lo
	flat_load_b32 v8, v[4:5]
	s_waitcnt vmcnt(0) lgkmcnt(0)
	v_div_scale_f32 v6, null, v41, v41, v8
	v_div_scale_f32 v10, vcc_lo, v8, v41, v8
	s_delay_alu instid0(VALU_DEP_2) | instskip(SKIP_2) | instid1(VALU_DEP_1)
	v_rcp_f32_e32 v7, v6
	s_waitcnt_depctr 0xfff
	v_fma_f32 v9, -v6, v7, 1.0
	v_fmac_f32_e32 v7, v9, v7
	s_delay_alu instid0(VALU_DEP_1) | instskip(NEXT) | instid1(VALU_DEP_1)
	v_mul_f32_e32 v9, v10, v7
	v_fma_f32 v11, -v6, v9, v10
	s_delay_alu instid0(VALU_DEP_1) | instskip(NEXT) | instid1(VALU_DEP_1)
	v_fmac_f32_e32 v9, v11, v7
	v_fma_f32 v6, -v6, v9, v10
	s_delay_alu instid0(VALU_DEP_1) | instskip(SKIP_2) | instid1(VALU_DEP_3)
	v_div_fmas_f32 v9, v6, v7, v9
	v_add_co_u32 v6, vcc_lo, v2, s2
	v_add_co_ci_u32_e32 v7, vcc_lo, s3, v3, vcc_lo
	v_div_fixup_f32 v8, v9, v41, v8
	s_add_u32 s2, s2, 32
	s_addc_u32 s3, s3, 0
	s_add_u32 s4, s4, -8
	s_addc_u32 s5, s5, -1
	global_store_b32 v[6:7], v8, off
	flat_load_b32 v8, v[4:5] offset:4
	s_cmp_lg_u64 s[4:5], 0
	s_waitcnt vmcnt(0) lgkmcnt(0)
	v_div_scale_f32 v9, null, v41, v41, v8
	v_div_scale_f32 v12, vcc_lo, v8, v41, v8
	s_delay_alu instid0(VALU_DEP_2) | instskip(SKIP_2) | instid1(VALU_DEP_1)
	v_rcp_f32_e32 v10, v9
	s_waitcnt_depctr 0xfff
	v_fma_f32 v11, -v9, v10, 1.0
	v_fmac_f32_e32 v10, v11, v10
	s_delay_alu instid0(VALU_DEP_1) | instskip(NEXT) | instid1(VALU_DEP_1)
	v_mul_f32_e32 v11, v12, v10
	v_fma_f32 v13, -v9, v11, v12
	s_delay_alu instid0(VALU_DEP_1) | instskip(NEXT) | instid1(VALU_DEP_1)
	v_fmac_f32_e32 v11, v13, v10
	v_fma_f32 v9, -v9, v11, v12
	s_delay_alu instid0(VALU_DEP_1) | instskip(NEXT) | instid1(VALU_DEP_1)
	v_div_fmas_f32 v9, v9, v10, v11
	v_div_fixup_f32 v8, v9, v41, v8
	global_store_b32 v[6:7], v8, off offset:4
	flat_load_b32 v8, v[4:5] offset:8
	s_waitcnt vmcnt(0) lgkmcnt(0)
	v_div_scale_f32 v9, null, v41, v41, v8
	v_div_scale_f32 v12, vcc_lo, v8, v41, v8
	s_delay_alu instid0(VALU_DEP_2) | instskip(SKIP_2) | instid1(VALU_DEP_1)
	v_rcp_f32_e32 v10, v9
	s_waitcnt_depctr 0xfff
	v_fma_f32 v11, -v9, v10, 1.0
	v_fmac_f32_e32 v10, v11, v10
	s_delay_alu instid0(VALU_DEP_1) | instskip(NEXT) | instid1(VALU_DEP_1)
	v_mul_f32_e32 v11, v12, v10
	v_fma_f32 v13, -v9, v11, v12
	s_delay_alu instid0(VALU_DEP_1) | instskip(NEXT) | instid1(VALU_DEP_1)
	v_fmac_f32_e32 v11, v13, v10
	v_fma_f32 v9, -v9, v11, v12
	s_delay_alu instid0(VALU_DEP_1) | instskip(NEXT) | instid1(VALU_DEP_1)
	v_div_fmas_f32 v9, v9, v10, v11
	v_div_fixup_f32 v8, v9, v41, v8
	global_store_b32 v[6:7], v8, off offset:8
	flat_load_b32 v8, v[4:5] offset:12
	;; [unrolled: 19-line block ×6, first 2 shown]
	s_waitcnt vmcnt(0) lgkmcnt(0)
	v_div_scale_f32 v5, null, v41, v41, v4
	v_div_scale_f32 v10, vcc_lo, v4, v41, v4
	s_delay_alu instid0(VALU_DEP_2) | instskip(SKIP_2) | instid1(VALU_DEP_1)
	v_rcp_f32_e32 v8, v5
	s_waitcnt_depctr 0xfff
	v_fma_f32 v9, -v5, v8, 1.0
	v_fmac_f32_e32 v8, v9, v8
	s_delay_alu instid0(VALU_DEP_1) | instskip(NEXT) | instid1(VALU_DEP_1)
	v_mul_f32_e32 v9, v10, v8
	v_fma_f32 v11, -v5, v9, v10
	s_delay_alu instid0(VALU_DEP_1) | instskip(NEXT) | instid1(VALU_DEP_1)
	v_fmac_f32_e32 v9, v11, v8
	v_fma_f32 v5, -v5, v9, v10
	s_delay_alu instid0(VALU_DEP_1) | instskip(NEXT) | instid1(VALU_DEP_1)
	v_div_fmas_f32 v5, v5, v8, v9
	v_div_fixup_f32 v4, v5, v41, v4
	global_store_b32 v[6:7], v4, off offset:28
	s_cbranch_scc1 .LBB11_213
.LBB11_214:
	s_and_b32 s2, s48, 7
	s_mov_b32 s3, 0
	s_delay_alu instid0(SALU_CYCLE_1)
	s_cmp_eq_u64 s[2:3], 0
	s_cbranch_scc1 .LBB11_217
; %bb.215:
	s_mov_b64 s[4:5], s[2:3]
	s_set_inst_prefetch_distance 0x1
	.p2align	6
.LBB11_216:                             ; =>This Inner Loop Header: Depth=1
	s_lshl_b64 s[6:7], s[0:1], 2
	s_add_i32 s2, s0, 1
	v_add_co_u32 v4, vcc_lo, v0, s6
	v_add_co_ci_u32_e32 v5, vcc_lo, s7, v1, vcc_lo
	s_add_u32 s4, s4, -1
	s_addc_u32 s5, s5, -1
	s_mov_b64 s[0:1], s[2:3]
	flat_load_b32 v6, v[4:5]
	s_cmp_lg_u64 s[4:5], 0
	s_waitcnt vmcnt(0) lgkmcnt(0)
	v_div_scale_f32 v4, null, v41, v41, v6
	v_div_scale_f32 v8, vcc_lo, v6, v41, v6
	s_delay_alu instid0(VALU_DEP_2) | instskip(SKIP_2) | instid1(VALU_DEP_1)
	v_rcp_f32_e32 v5, v4
	s_waitcnt_depctr 0xfff
	v_fma_f32 v7, -v4, v5, 1.0
	v_fmac_f32_e32 v5, v7, v5
	s_delay_alu instid0(VALU_DEP_1) | instskip(NEXT) | instid1(VALU_DEP_1)
	v_mul_f32_e32 v7, v8, v5
	v_fma_f32 v9, -v4, v7, v8
	s_delay_alu instid0(VALU_DEP_1) | instskip(NEXT) | instid1(VALU_DEP_1)
	v_fmac_f32_e32 v7, v9, v5
	v_fma_f32 v4, -v4, v7, v8
	s_delay_alu instid0(VALU_DEP_1) | instskip(SKIP_2) | instid1(VALU_DEP_3)
	v_div_fmas_f32 v7, v4, v5, v7
	v_add_co_u32 v4, vcc_lo, v2, s6
	v_add_co_ci_u32_e32 v5, vcc_lo, s7, v3, vcc_lo
	v_div_fixup_f32 v6, v7, v41, v6
	global_store_b32 v[4:5], v6, off
	s_cbranch_scc1 .LBB11_216
.LBB11_217:
	s_set_inst_prefetch_distance 0x2
	s_nop 0
	s_sendmsg sendmsg(MSG_DEALLOC_VGPRS)
	s_endpgm
	.section	.rodata,"a",@progbits
	.p2align	6, 0x0
	.amdhsa_kernel _Z21moe_fused_gate_kernelIDF16_Li32ELi128ELi4ELi1EEvPvS0_PfPilllldi
		.amdhsa_group_segment_fixed_size 0
		.amdhsa_private_segment_fixed_size 0
		.amdhsa_kernarg_size 76
		.amdhsa_user_sgpr_count 15
		.amdhsa_user_sgpr_dispatch_ptr 0
		.amdhsa_user_sgpr_queue_ptr 0
		.amdhsa_user_sgpr_kernarg_segment_ptr 1
		.amdhsa_user_sgpr_dispatch_id 0
		.amdhsa_user_sgpr_private_segment_size 0
		.amdhsa_wavefront_size32 1
		.amdhsa_uses_dynamic_stack 0
		.amdhsa_enable_private_segment 0
		.amdhsa_system_sgpr_workgroup_id_x 1
		.amdhsa_system_sgpr_workgroup_id_y 0
		.amdhsa_system_sgpr_workgroup_id_z 0
		.amdhsa_system_sgpr_workgroup_info 0
		.amdhsa_system_vgpr_workitem_id 1
		.amdhsa_next_free_vgpr 81
		.amdhsa_next_free_sgpr 52
		.amdhsa_reserve_vcc 1
		.amdhsa_float_round_mode_32 0
		.amdhsa_float_round_mode_16_64 0
		.amdhsa_float_denorm_mode_32 3
		.amdhsa_float_denorm_mode_16_64 3
		.amdhsa_dx10_clamp 1
		.amdhsa_ieee_mode 1
		.amdhsa_fp16_overflow 0
		.amdhsa_workgroup_processor_mode 1
		.amdhsa_memory_ordered 1
		.amdhsa_forward_progress 0
		.amdhsa_shared_vgpr_count 0
		.amdhsa_exception_fp_ieee_invalid_op 0
		.amdhsa_exception_fp_denorm_src 0
		.amdhsa_exception_fp_ieee_div_zero 0
		.amdhsa_exception_fp_ieee_overflow 0
		.amdhsa_exception_fp_ieee_underflow 0
		.amdhsa_exception_fp_ieee_inexact 0
		.amdhsa_exception_int_div_zero 0
	.end_amdhsa_kernel
	.section	.text._Z21moe_fused_gate_kernelIDF16_Li32ELi128ELi4ELi1EEvPvS0_PfPilllldi,"axG",@progbits,_Z21moe_fused_gate_kernelIDF16_Li32ELi128ELi4ELi1EEvPvS0_PfPilllldi,comdat
.Lfunc_end11:
	.size	_Z21moe_fused_gate_kernelIDF16_Li32ELi128ELi4ELi1EEvPvS0_PfPilllldi, .Lfunc_end11-_Z21moe_fused_gate_kernelIDF16_Li32ELi128ELi4ELi1EEvPvS0_PfPilllldi
                                        ; -- End function
	.section	.AMDGPU.csdata,"",@progbits
; Kernel info:
; codeLenInByte = 14548
; NumSgprs: 54
; NumVgprs: 81
; ScratchSize: 0
; MemoryBound: 1
; FloatMode: 240
; IeeeMode: 1
; LDSByteSize: 0 bytes/workgroup (compile time only)
; SGPRBlocks: 6
; VGPRBlocks: 10
; NumSGPRsForWavesPerEU: 54
; NumVGPRsForWavesPerEU: 81
; Occupancy: 16
; WaveLimiterHint : 0
; COMPUTE_PGM_RSRC2:SCRATCH_EN: 0
; COMPUTE_PGM_RSRC2:USER_SGPR: 15
; COMPUTE_PGM_RSRC2:TRAP_HANDLER: 0
; COMPUTE_PGM_RSRC2:TGID_X_EN: 1
; COMPUTE_PGM_RSRC2:TGID_Y_EN: 0
; COMPUTE_PGM_RSRC2:TGID_Z_EN: 0
; COMPUTE_PGM_RSRC2:TIDIG_COMP_CNT: 1
	.section	.text._Z21moe_fused_gate_kernelIfLi32ELi128ELi4ELi1EEvPvS0_PfPilllldi,"axG",@progbits,_Z21moe_fused_gate_kernelIfLi32ELi128ELi4ELi1EEvPvS0_PfPilllldi,comdat
	.protected	_Z21moe_fused_gate_kernelIfLi32ELi128ELi4ELi1EEvPvS0_PfPilllldi ; -- Begin function _Z21moe_fused_gate_kernelIfLi32ELi128ELi4ELi1EEvPvS0_PfPilllldi
	.globl	_Z21moe_fused_gate_kernelIfLi32ELi128ELi4ELi1EEvPvS0_PfPilllldi
	.p2align	8
	.type	_Z21moe_fused_gate_kernelIfLi32ELi128ELi4ELi1EEvPvS0_PfPilllldi,@function
_Z21moe_fused_gate_kernelIfLi32ELi128ELi4ELi1EEvPvS0_PfPilllldi: ; @_Z21moe_fused_gate_kernelIfLi32ELi128ELi4ELi1EEvPvS0_PfPilllldi
; %bb.0:
	s_load_b512 s[36:51], s[0:1], 0x0
	v_bfe_u32 v1, v0, 10, 10
	v_and_b32_e32 v69, 0x3ff, v0
	s_mov_b32 s2, exec_lo
	s_delay_alu instid0(VALU_DEP_2) | instskip(NEXT) | instid1(VALU_DEP_2)
	v_dual_mov_b32 v67, 0 :: v_dual_add_nc_u32 v0, s15, v1
	v_lshrrev_b32_e32 v1, 2, v69
	s_delay_alu instid0(VALU_DEP_2) | instskip(NEXT) | instid1(VALU_DEP_2)
	v_mov_b32_e32 v65, v67
	v_lshl_add_u32 v64, v0, 3, v1
	s_waitcnt lgkmcnt(0)
	s_delay_alu instid0(VALU_DEP_1)
	v_cmpx_gt_i64_e64 s[44:45], v[64:65]
	s_cbranch_execz .LBB12_217
; %bb.1:
	v_lshlrev_b64 v[0:1], 9, v[64:65]
	v_and_b32_e32 v66, 3, v69
	s_mov_b32 s2, exec_lo
	s_delay_alu instid0(VALU_DEP_1) | instskip(NEXT) | instid1(VALU_DEP_3)
	v_lshlrev_b32_e32 v28, 7, v66
	v_add_co_u32 v0, vcc_lo, s36, v0
	s_delay_alu instid0(VALU_DEP_4) | instskip(NEXT) | instid1(VALU_DEP_2)
	v_add_co_ci_u32_e32 v1, vcc_lo, s37, v1, vcc_lo
	v_add_co_u32 v0, vcc_lo, v0, v28
	s_delay_alu instid0(VALU_DEP_2)
	v_add_co_ci_u32_e32 v1, vcc_lo, 0, v1, vcc_lo
	s_clause 0x7
	global_load_b128 v[32:35], v[0:1], off offset:112
	global_load_b128 v[36:39], v[0:1], off offset:96
	;; [unrolled: 1-line block ×7, first 2 shown]
	global_load_b128 v[60:63], v[0:1], off
	s_clause 0x7
	global_load_b128 v[0:3], v28, s[38:39] offset:112
	global_load_b128 v[4:7], v28, s[38:39] offset:96
	global_load_b128 v[8:11], v28, s[38:39] offset:80
	global_load_b128 v[12:15], v28, s[38:39] offset:64
	global_load_b128 v[16:19], v28, s[38:39] offset:48
	global_load_b128 v[20:23], v28, s[38:39] offset:32
	global_load_b128 v[24:27], v28, s[38:39] offset:16
	global_load_b128 v[28:31], v28, s[38:39]
	s_waitcnt vmcnt(8)
	v_cmpx_o_f32_e32 v60, v60
	s_cbranch_execz .LBB12_3
; %bb.2:
	v_mul_f32_e32 v67, 0xbfb8aa3b, v60
	v_cmp_nlt_f32_e32 vcc_lo, 0x42ce8ed0, v60
	s_delay_alu instid0(VALU_DEP_2) | instskip(SKIP_1) | instid1(VALU_DEP_1)
	v_rndne_f32_e32 v68, v67
	v_fma_f32 v70, 0xbfb8aa3b, v60, -v67
	v_dual_sub_f32 v67, v67, v68 :: v_dual_fmamk_f32 v70, v60, 0xb2a5705f, v70
	v_cvt_i32_f32_e32 v68, v68
	s_delay_alu instid0(VALU_DEP_2) | instskip(NEXT) | instid1(VALU_DEP_1)
	v_add_f32_e32 v67, v67, v70
	v_exp_f32_e32 v67, v67
	s_waitcnt_depctr 0xfff
	v_ldexp_f32 v67, v67, v68
	s_delay_alu instid0(VALU_DEP_1) | instskip(SKIP_1) | instid1(VALU_DEP_2)
	v_cndmask_b32_e32 v67, 0, v67, vcc_lo
	v_cmp_ngt_f32_e32 vcc_lo, 0xc2b17218, v60
	v_cndmask_b32_e32 v60, 0x7f800000, v67, vcc_lo
	s_delay_alu instid0(VALU_DEP_1) | instskip(NEXT) | instid1(VALU_DEP_1)
	v_add_f32_e32 v60, 1.0, v60
	v_div_scale_f32 v67, null, v60, v60, 1.0
	s_delay_alu instid0(VALU_DEP_1) | instskip(SKIP_2) | instid1(VALU_DEP_1)
	v_rcp_f32_e32 v68, v67
	s_waitcnt_depctr 0xfff
	v_fma_f32 v70, -v67, v68, 1.0
	v_fmac_f32_e32 v68, v70, v68
	v_div_scale_f32 v70, vcc_lo, 1.0, v60, 1.0
	s_delay_alu instid0(VALU_DEP_1) | instskip(NEXT) | instid1(VALU_DEP_1)
	v_mul_f32_e32 v71, v70, v68
	v_fma_f32 v72, -v67, v71, v70
	s_delay_alu instid0(VALU_DEP_1) | instskip(NEXT) | instid1(VALU_DEP_1)
	v_fmac_f32_e32 v71, v72, v68
	v_fma_f32 v67, -v67, v71, v70
	s_delay_alu instid0(VALU_DEP_1) | instskip(NEXT) | instid1(VALU_DEP_1)
	v_div_fmas_f32 v67, v67, v68, v71
	v_div_fixup_f32 v67, v67, v60, 1.0
.LBB12_3:
	s_or_b32 exec_lo, exec_lo, s2
	v_mov_b32_e32 v60, 0
	v_mov_b32_e32 v68, 0
	s_mov_b32 s2, exec_lo
	v_cmpx_o_f32_e32 v61, v61
	s_cbranch_execz .LBB12_5
; %bb.4:
	v_mul_f32_e32 v68, 0xbfb8aa3b, v61
	v_cmp_nlt_f32_e32 vcc_lo, 0x42ce8ed0, v61
	s_delay_alu instid0(VALU_DEP_2) | instskip(SKIP_1) | instid1(VALU_DEP_1)
	v_rndne_f32_e32 v70, v68
	v_fma_f32 v71, 0xbfb8aa3b, v61, -v68
	v_dual_sub_f32 v68, v68, v70 :: v_dual_fmamk_f32 v71, v61, 0xb2a5705f, v71
	v_cvt_i32_f32_e32 v70, v70
	s_delay_alu instid0(VALU_DEP_2) | instskip(NEXT) | instid1(VALU_DEP_1)
	v_add_f32_e32 v68, v68, v71
	v_exp_f32_e32 v68, v68
	s_waitcnt_depctr 0xfff
	v_ldexp_f32 v68, v68, v70
	s_delay_alu instid0(VALU_DEP_1) | instskip(SKIP_1) | instid1(VALU_DEP_2)
	v_cndmask_b32_e32 v68, 0, v68, vcc_lo
	v_cmp_ngt_f32_e32 vcc_lo, 0xc2b17218, v61
	v_cndmask_b32_e32 v61, 0x7f800000, v68, vcc_lo
	s_delay_alu instid0(VALU_DEP_1) | instskip(NEXT) | instid1(VALU_DEP_1)
	v_add_f32_e32 v61, 1.0, v61
	v_div_scale_f32 v68, null, v61, v61, 1.0
	s_delay_alu instid0(VALU_DEP_1) | instskip(SKIP_2) | instid1(VALU_DEP_1)
	v_rcp_f32_e32 v70, v68
	s_waitcnt_depctr 0xfff
	v_fma_f32 v71, -v68, v70, 1.0
	v_fmac_f32_e32 v70, v71, v70
	v_div_scale_f32 v71, vcc_lo, 1.0, v61, 1.0
	s_delay_alu instid0(VALU_DEP_1) | instskip(NEXT) | instid1(VALU_DEP_1)
	v_mul_f32_e32 v72, v71, v70
	v_fma_f32 v73, -v68, v72, v71
	s_delay_alu instid0(VALU_DEP_1) | instskip(NEXT) | instid1(VALU_DEP_1)
	v_fmac_f32_e32 v72, v73, v70
	v_fma_f32 v68, -v68, v72, v71
	s_delay_alu instid0(VALU_DEP_1) | instskip(NEXT) | instid1(VALU_DEP_1)
	v_div_fmas_f32 v68, v68, v70, v72
	v_div_fixup_f32 v68, v68, v61, 1.0
.LBB12_5:
	s_or_b32 exec_lo, exec_lo, s2
	s_delay_alu instid0(SALU_CYCLE_1)
	s_mov_b32 s2, exec_lo
	v_cmpx_o_f32_e32 v62, v62
	s_cbranch_execz .LBB12_7
; %bb.6:
	v_mul_f32_e32 v60, 0xbfb8aa3b, v62
	v_cmp_nlt_f32_e32 vcc_lo, 0x42ce8ed0, v62
	s_delay_alu instid0(VALU_DEP_2) | instskip(SKIP_1) | instid1(VALU_DEP_2)
	v_rndne_f32_e32 v61, v60
	v_fma_f32 v70, 0xbfb8aa3b, v62, -v60
	v_sub_f32_e32 v60, v60, v61
	s_delay_alu instid0(VALU_DEP_2) | instskip(SKIP_1) | instid1(VALU_DEP_2)
	v_fmamk_f32 v70, v62, 0xb2a5705f, v70
	v_cvt_i32_f32_e32 v61, v61
	v_add_f32_e32 v60, v60, v70
	s_delay_alu instid0(VALU_DEP_1) | instskip(SKIP_2) | instid1(VALU_DEP_1)
	v_exp_f32_e32 v60, v60
	s_waitcnt_depctr 0xfff
	v_ldexp_f32 v60, v60, v61
	v_cndmask_b32_e32 v60, 0, v60, vcc_lo
	v_cmp_ngt_f32_e32 vcc_lo, 0xc2b17218, v62
	s_delay_alu instid0(VALU_DEP_2) | instskip(NEXT) | instid1(VALU_DEP_1)
	v_cndmask_b32_e32 v60, 0x7f800000, v60, vcc_lo
	v_add_f32_e32 v60, 1.0, v60
	s_delay_alu instid0(VALU_DEP_1) | instskip(NEXT) | instid1(VALU_DEP_1)
	v_div_scale_f32 v61, null, v60, v60, 1.0
	v_rcp_f32_e32 v62, v61
	s_waitcnt_depctr 0xfff
	v_fma_f32 v70, -v61, v62, 1.0
	s_delay_alu instid0(VALU_DEP_1) | instskip(SKIP_1) | instid1(VALU_DEP_1)
	v_fmac_f32_e32 v62, v70, v62
	v_div_scale_f32 v70, vcc_lo, 1.0, v60, 1.0
	v_mul_f32_e32 v71, v70, v62
	s_delay_alu instid0(VALU_DEP_1) | instskip(NEXT) | instid1(VALU_DEP_1)
	v_fma_f32 v72, -v61, v71, v70
	v_fmac_f32_e32 v71, v72, v62
	s_delay_alu instid0(VALU_DEP_1) | instskip(NEXT) | instid1(VALU_DEP_1)
	v_fma_f32 v61, -v61, v71, v70
	v_div_fmas_f32 v61, v61, v62, v71
	s_delay_alu instid0(VALU_DEP_1)
	v_div_fixup_f32 v60, v61, v60, 1.0
.LBB12_7:
	s_or_b32 exec_lo, exec_lo, s2
	v_dual_mov_b32 v61, 0 :: v_dual_mov_b32 v62, 0
	s_mov_b32 s2, exec_lo
	v_cmpx_o_f32_e32 v63, v63
	s_cbranch_execz .LBB12_9
; %bb.8:
	v_mul_f32_e32 v62, 0xbfb8aa3b, v63
	v_cmp_nlt_f32_e32 vcc_lo, 0x42ce8ed0, v63
	s_delay_alu instid0(VALU_DEP_2) | instskip(SKIP_1) | instid1(VALU_DEP_1)
	v_rndne_f32_e32 v70, v62
	v_fma_f32 v71, 0xbfb8aa3b, v63, -v62
	v_dual_sub_f32 v62, v62, v70 :: v_dual_fmamk_f32 v71, v63, 0xb2a5705f, v71
	v_cvt_i32_f32_e32 v70, v70
	s_delay_alu instid0(VALU_DEP_2) | instskip(NEXT) | instid1(VALU_DEP_1)
	v_add_f32_e32 v62, v62, v71
	v_exp_f32_e32 v62, v62
	s_waitcnt_depctr 0xfff
	v_ldexp_f32 v62, v62, v70
	s_delay_alu instid0(VALU_DEP_1) | instskip(SKIP_1) | instid1(VALU_DEP_2)
	v_cndmask_b32_e32 v62, 0, v62, vcc_lo
	v_cmp_ngt_f32_e32 vcc_lo, 0xc2b17218, v63
	v_cndmask_b32_e32 v62, 0x7f800000, v62, vcc_lo
	s_delay_alu instid0(VALU_DEP_1) | instskip(NEXT) | instid1(VALU_DEP_1)
	v_add_f32_e32 v62, 1.0, v62
	v_div_scale_f32 v63, null, v62, v62, 1.0
	s_delay_alu instid0(VALU_DEP_1) | instskip(SKIP_2) | instid1(VALU_DEP_1)
	v_rcp_f32_e32 v70, v63
	s_waitcnt_depctr 0xfff
	v_fma_f32 v71, -v63, v70, 1.0
	v_fmac_f32_e32 v70, v71, v70
	v_div_scale_f32 v71, vcc_lo, 1.0, v62, 1.0
	s_delay_alu instid0(VALU_DEP_1) | instskip(NEXT) | instid1(VALU_DEP_1)
	v_mul_f32_e32 v72, v71, v70
	v_fma_f32 v73, -v63, v72, v71
	s_delay_alu instid0(VALU_DEP_1) | instskip(NEXT) | instid1(VALU_DEP_1)
	v_fmac_f32_e32 v72, v73, v70
	v_fma_f32 v63, -v63, v72, v71
	s_delay_alu instid0(VALU_DEP_1) | instskip(NEXT) | instid1(VALU_DEP_1)
	v_div_fmas_f32 v63, v63, v70, v72
	v_div_fixup_f32 v62, v63, v62, 1.0
.LBB12_9:
	s_or_b32 exec_lo, exec_lo, s2
	s_delay_alu instid0(SALU_CYCLE_1)
	s_mov_b32 s2, exec_lo
	v_cmpx_o_f32_e32 v56, v56
	s_cbranch_execz .LBB12_11
; %bb.10:
	v_mul_f32_e32 v61, 0xbfb8aa3b, v56
	v_cmp_nlt_f32_e32 vcc_lo, 0x42ce8ed0, v56
	s_delay_alu instid0(VALU_DEP_2) | instskip(SKIP_1) | instid1(VALU_DEP_1)
	v_rndne_f32_e32 v63, v61
	v_fma_f32 v70, 0xbfb8aa3b, v56, -v61
	v_dual_sub_f32 v61, v61, v63 :: v_dual_fmamk_f32 v70, v56, 0xb2a5705f, v70
	v_cvt_i32_f32_e32 v63, v63
	s_delay_alu instid0(VALU_DEP_2) | instskip(NEXT) | instid1(VALU_DEP_1)
	v_add_f32_e32 v61, v61, v70
	v_exp_f32_e32 v61, v61
	s_waitcnt_depctr 0xfff
	v_ldexp_f32 v61, v61, v63
	s_delay_alu instid0(VALU_DEP_1) | instskip(SKIP_1) | instid1(VALU_DEP_2)
	v_cndmask_b32_e32 v61, 0, v61, vcc_lo
	v_cmp_ngt_f32_e32 vcc_lo, 0xc2b17218, v56
	v_cndmask_b32_e32 v56, 0x7f800000, v61, vcc_lo
	s_delay_alu instid0(VALU_DEP_1) | instskip(NEXT) | instid1(VALU_DEP_1)
	v_add_f32_e32 v56, 1.0, v56
	v_div_scale_f32 v61, null, v56, v56, 1.0
	s_delay_alu instid0(VALU_DEP_1) | instskip(SKIP_2) | instid1(VALU_DEP_1)
	v_rcp_f32_e32 v63, v61
	s_waitcnt_depctr 0xfff
	v_fma_f32 v70, -v61, v63, 1.0
	v_fmac_f32_e32 v63, v70, v63
	v_div_scale_f32 v70, vcc_lo, 1.0, v56, 1.0
	s_delay_alu instid0(VALU_DEP_1) | instskip(NEXT) | instid1(VALU_DEP_1)
	v_mul_f32_e32 v71, v70, v63
	v_fma_f32 v72, -v61, v71, v70
	s_delay_alu instid0(VALU_DEP_1) | instskip(NEXT) | instid1(VALU_DEP_1)
	v_fmac_f32_e32 v71, v72, v63
	v_fma_f32 v61, -v61, v71, v70
	s_delay_alu instid0(VALU_DEP_1) | instskip(NEXT) | instid1(VALU_DEP_1)
	v_div_fmas_f32 v61, v61, v63, v71
	v_div_fixup_f32 v61, v61, v56, 1.0
.LBB12_11:
	s_or_b32 exec_lo, exec_lo, s2
	v_dual_mov_b32 v56, 0 :: v_dual_mov_b32 v63, 0
	s_mov_b32 s2, exec_lo
	v_cmpx_o_f32_e32 v57, v57
	s_cbranch_execz .LBB12_13
; %bb.12:
	v_mul_f32_e32 v63, 0xbfb8aa3b, v57
	v_cmp_nlt_f32_e32 vcc_lo, 0x42ce8ed0, v57
	s_delay_alu instid0(VALU_DEP_2) | instskip(SKIP_1) | instid1(VALU_DEP_2)
	v_rndne_f32_e32 v70, v63
	v_fma_f32 v71, 0xbfb8aa3b, v57, -v63
	v_sub_f32_e32 v63, v63, v70
	s_delay_alu instid0(VALU_DEP_2) | instskip(SKIP_1) | instid1(VALU_DEP_2)
	v_fmamk_f32 v71, v57, 0xb2a5705f, v71
	v_cvt_i32_f32_e32 v70, v70
	v_add_f32_e32 v63, v63, v71
	s_delay_alu instid0(VALU_DEP_1) | instskip(SKIP_2) | instid1(VALU_DEP_1)
	v_exp_f32_e32 v63, v63
	s_waitcnt_depctr 0xfff
	v_ldexp_f32 v63, v63, v70
	v_cndmask_b32_e32 v63, 0, v63, vcc_lo
	v_cmp_ngt_f32_e32 vcc_lo, 0xc2b17218, v57
	s_delay_alu instid0(VALU_DEP_2) | instskip(NEXT) | instid1(VALU_DEP_1)
	v_cndmask_b32_e32 v57, 0x7f800000, v63, vcc_lo
	v_add_f32_e32 v57, 1.0, v57
	s_delay_alu instid0(VALU_DEP_1) | instskip(NEXT) | instid1(VALU_DEP_1)
	v_div_scale_f32 v63, null, v57, v57, 1.0
	v_rcp_f32_e32 v70, v63
	s_waitcnt_depctr 0xfff
	v_fma_f32 v71, -v63, v70, 1.0
	s_delay_alu instid0(VALU_DEP_1) | instskip(SKIP_1) | instid1(VALU_DEP_1)
	v_fmac_f32_e32 v70, v71, v70
	v_div_scale_f32 v71, vcc_lo, 1.0, v57, 1.0
	v_mul_f32_e32 v72, v71, v70
	s_delay_alu instid0(VALU_DEP_1) | instskip(NEXT) | instid1(VALU_DEP_1)
	v_fma_f32 v73, -v63, v72, v71
	v_fmac_f32_e32 v72, v73, v70
	s_delay_alu instid0(VALU_DEP_1) | instskip(NEXT) | instid1(VALU_DEP_1)
	v_fma_f32 v63, -v63, v72, v71
	v_div_fmas_f32 v63, v63, v70, v72
	s_delay_alu instid0(VALU_DEP_1)
	v_div_fixup_f32 v63, v63, v57, 1.0
.LBB12_13:
	s_or_b32 exec_lo, exec_lo, s2
	s_delay_alu instid0(SALU_CYCLE_1)
	s_mov_b32 s2, exec_lo
	v_cmpx_o_f32_e32 v58, v58
	s_cbranch_execz .LBB12_15
; %bb.14:
	v_mul_f32_e32 v56, 0xbfb8aa3b, v58
	v_cmp_nlt_f32_e32 vcc_lo, 0x42ce8ed0, v58
	s_delay_alu instid0(VALU_DEP_2) | instskip(SKIP_1) | instid1(VALU_DEP_2)
	v_rndne_f32_e32 v57, v56
	v_fma_f32 v70, 0xbfb8aa3b, v58, -v56
	v_sub_f32_e32 v56, v56, v57
	s_delay_alu instid0(VALU_DEP_2) | instskip(SKIP_1) | instid1(VALU_DEP_2)
	v_fmamk_f32 v70, v58, 0xb2a5705f, v70
	v_cvt_i32_f32_e32 v57, v57
	v_add_f32_e32 v56, v56, v70
	s_delay_alu instid0(VALU_DEP_1) | instskip(SKIP_2) | instid1(VALU_DEP_1)
	v_exp_f32_e32 v56, v56
	s_waitcnt_depctr 0xfff
	v_ldexp_f32 v56, v56, v57
	v_cndmask_b32_e32 v56, 0, v56, vcc_lo
	v_cmp_ngt_f32_e32 vcc_lo, 0xc2b17218, v58
	s_delay_alu instid0(VALU_DEP_2) | instskip(NEXT) | instid1(VALU_DEP_1)
	v_cndmask_b32_e32 v56, 0x7f800000, v56, vcc_lo
	v_add_f32_e32 v56, 1.0, v56
	s_delay_alu instid0(VALU_DEP_1) | instskip(NEXT) | instid1(VALU_DEP_1)
	v_div_scale_f32 v57, null, v56, v56, 1.0
	v_rcp_f32_e32 v58, v57
	s_waitcnt_depctr 0xfff
	v_fma_f32 v70, -v57, v58, 1.0
	s_delay_alu instid0(VALU_DEP_1) | instskip(SKIP_1) | instid1(VALU_DEP_1)
	v_fmac_f32_e32 v58, v70, v58
	v_div_scale_f32 v70, vcc_lo, 1.0, v56, 1.0
	v_mul_f32_e32 v71, v70, v58
	s_delay_alu instid0(VALU_DEP_1) | instskip(NEXT) | instid1(VALU_DEP_1)
	v_fma_f32 v72, -v57, v71, v70
	v_fmac_f32_e32 v71, v72, v58
	s_delay_alu instid0(VALU_DEP_1) | instskip(NEXT) | instid1(VALU_DEP_1)
	v_fma_f32 v57, -v57, v71, v70
	v_div_fmas_f32 v57, v57, v58, v71
	s_delay_alu instid0(VALU_DEP_1)
	v_div_fixup_f32 v56, v57, v56, 1.0
.LBB12_15:
	s_or_b32 exec_lo, exec_lo, s2
	v_dual_mov_b32 v57, 0 :: v_dual_mov_b32 v58, 0
	s_mov_b32 s2, exec_lo
	v_cmpx_o_f32_e32 v59, v59
	s_cbranch_execz .LBB12_17
; %bb.16:
	v_mul_f32_e32 v58, 0xbfb8aa3b, v59
	v_cmp_nlt_f32_e32 vcc_lo, 0x42ce8ed0, v59
	s_delay_alu instid0(VALU_DEP_2) | instskip(SKIP_1) | instid1(VALU_DEP_1)
	v_rndne_f32_e32 v70, v58
	v_fma_f32 v71, 0xbfb8aa3b, v59, -v58
	v_dual_sub_f32 v58, v58, v70 :: v_dual_fmamk_f32 v71, v59, 0xb2a5705f, v71
	v_cvt_i32_f32_e32 v70, v70
	s_delay_alu instid0(VALU_DEP_2) | instskip(NEXT) | instid1(VALU_DEP_1)
	v_add_f32_e32 v58, v58, v71
	v_exp_f32_e32 v58, v58
	s_waitcnt_depctr 0xfff
	v_ldexp_f32 v58, v58, v70
	s_delay_alu instid0(VALU_DEP_1) | instskip(SKIP_1) | instid1(VALU_DEP_2)
	v_cndmask_b32_e32 v58, 0, v58, vcc_lo
	v_cmp_ngt_f32_e32 vcc_lo, 0xc2b17218, v59
	v_cndmask_b32_e32 v58, 0x7f800000, v58, vcc_lo
	s_delay_alu instid0(VALU_DEP_1) | instskip(NEXT) | instid1(VALU_DEP_1)
	v_add_f32_e32 v58, 1.0, v58
	v_div_scale_f32 v59, null, v58, v58, 1.0
	s_delay_alu instid0(VALU_DEP_1) | instskip(SKIP_2) | instid1(VALU_DEP_1)
	v_rcp_f32_e32 v70, v59
	s_waitcnt_depctr 0xfff
	v_fma_f32 v71, -v59, v70, 1.0
	v_fmac_f32_e32 v70, v71, v70
	v_div_scale_f32 v71, vcc_lo, 1.0, v58, 1.0
	s_delay_alu instid0(VALU_DEP_1) | instskip(NEXT) | instid1(VALU_DEP_1)
	v_mul_f32_e32 v72, v71, v70
	v_fma_f32 v73, -v59, v72, v71
	s_delay_alu instid0(VALU_DEP_1) | instskip(NEXT) | instid1(VALU_DEP_1)
	v_fmac_f32_e32 v72, v73, v70
	v_fma_f32 v59, -v59, v72, v71
	s_delay_alu instid0(VALU_DEP_1) | instskip(NEXT) | instid1(VALU_DEP_1)
	v_div_fmas_f32 v59, v59, v70, v72
	v_div_fixup_f32 v58, v59, v58, 1.0
.LBB12_17:
	s_or_b32 exec_lo, exec_lo, s2
	s_delay_alu instid0(SALU_CYCLE_1)
	s_mov_b32 s2, exec_lo
	v_cmpx_o_f32_e32 v52, v52
	s_cbranch_execz .LBB12_19
; %bb.18:
	v_mul_f32_e32 v57, 0xbfb8aa3b, v52
	v_cmp_nlt_f32_e32 vcc_lo, 0x42ce8ed0, v52
	s_delay_alu instid0(VALU_DEP_2) | instskip(SKIP_1) | instid1(VALU_DEP_1)
	v_rndne_f32_e32 v59, v57
	v_fma_f32 v70, 0xbfb8aa3b, v52, -v57
	v_dual_sub_f32 v57, v57, v59 :: v_dual_fmamk_f32 v70, v52, 0xb2a5705f, v70
	v_cvt_i32_f32_e32 v59, v59
	s_delay_alu instid0(VALU_DEP_2) | instskip(NEXT) | instid1(VALU_DEP_1)
	v_add_f32_e32 v57, v57, v70
	v_exp_f32_e32 v57, v57
	s_waitcnt_depctr 0xfff
	v_ldexp_f32 v57, v57, v59
	s_delay_alu instid0(VALU_DEP_1) | instskip(SKIP_1) | instid1(VALU_DEP_2)
	v_cndmask_b32_e32 v57, 0, v57, vcc_lo
	v_cmp_ngt_f32_e32 vcc_lo, 0xc2b17218, v52
	v_cndmask_b32_e32 v52, 0x7f800000, v57, vcc_lo
	s_delay_alu instid0(VALU_DEP_1) | instskip(NEXT) | instid1(VALU_DEP_1)
	v_add_f32_e32 v52, 1.0, v52
	v_div_scale_f32 v57, null, v52, v52, 1.0
	s_delay_alu instid0(VALU_DEP_1) | instskip(SKIP_2) | instid1(VALU_DEP_1)
	v_rcp_f32_e32 v59, v57
	s_waitcnt_depctr 0xfff
	v_fma_f32 v70, -v57, v59, 1.0
	v_fmac_f32_e32 v59, v70, v59
	v_div_scale_f32 v70, vcc_lo, 1.0, v52, 1.0
	s_delay_alu instid0(VALU_DEP_1) | instskip(NEXT) | instid1(VALU_DEP_1)
	v_mul_f32_e32 v71, v70, v59
	v_fma_f32 v72, -v57, v71, v70
	s_delay_alu instid0(VALU_DEP_1) | instskip(NEXT) | instid1(VALU_DEP_1)
	v_fmac_f32_e32 v71, v72, v59
	v_fma_f32 v57, -v57, v71, v70
	s_delay_alu instid0(VALU_DEP_1) | instskip(NEXT) | instid1(VALU_DEP_1)
	v_div_fmas_f32 v57, v57, v59, v71
	v_div_fixup_f32 v57, v57, v52, 1.0
.LBB12_19:
	s_or_b32 exec_lo, exec_lo, s2
	v_dual_mov_b32 v52, 0 :: v_dual_mov_b32 v59, 0
	s_mov_b32 s2, exec_lo
	v_cmpx_o_f32_e32 v53, v53
	s_cbranch_execz .LBB12_21
; %bb.20:
	v_mul_f32_e32 v59, 0xbfb8aa3b, v53
	v_cmp_nlt_f32_e32 vcc_lo, 0x42ce8ed0, v53
	s_delay_alu instid0(VALU_DEP_2) | instskip(SKIP_1) | instid1(VALU_DEP_2)
	v_rndne_f32_e32 v70, v59
	v_fma_f32 v71, 0xbfb8aa3b, v53, -v59
	v_sub_f32_e32 v59, v59, v70
	s_delay_alu instid0(VALU_DEP_2) | instskip(SKIP_1) | instid1(VALU_DEP_2)
	v_fmamk_f32 v71, v53, 0xb2a5705f, v71
	v_cvt_i32_f32_e32 v70, v70
	v_add_f32_e32 v59, v59, v71
	s_delay_alu instid0(VALU_DEP_1) | instskip(SKIP_2) | instid1(VALU_DEP_1)
	v_exp_f32_e32 v59, v59
	s_waitcnt_depctr 0xfff
	v_ldexp_f32 v59, v59, v70
	v_cndmask_b32_e32 v59, 0, v59, vcc_lo
	v_cmp_ngt_f32_e32 vcc_lo, 0xc2b17218, v53
	s_delay_alu instid0(VALU_DEP_2) | instskip(NEXT) | instid1(VALU_DEP_1)
	v_cndmask_b32_e32 v53, 0x7f800000, v59, vcc_lo
	v_add_f32_e32 v53, 1.0, v53
	s_delay_alu instid0(VALU_DEP_1) | instskip(NEXT) | instid1(VALU_DEP_1)
	v_div_scale_f32 v59, null, v53, v53, 1.0
	v_rcp_f32_e32 v70, v59
	s_waitcnt_depctr 0xfff
	v_fma_f32 v71, -v59, v70, 1.0
	s_delay_alu instid0(VALU_DEP_1) | instskip(SKIP_1) | instid1(VALU_DEP_1)
	v_fmac_f32_e32 v70, v71, v70
	v_div_scale_f32 v71, vcc_lo, 1.0, v53, 1.0
	v_mul_f32_e32 v72, v71, v70
	s_delay_alu instid0(VALU_DEP_1) | instskip(NEXT) | instid1(VALU_DEP_1)
	v_fma_f32 v73, -v59, v72, v71
	v_fmac_f32_e32 v72, v73, v70
	s_delay_alu instid0(VALU_DEP_1) | instskip(NEXT) | instid1(VALU_DEP_1)
	v_fma_f32 v59, -v59, v72, v71
	v_div_fmas_f32 v59, v59, v70, v72
	s_delay_alu instid0(VALU_DEP_1)
	v_div_fixup_f32 v59, v59, v53, 1.0
.LBB12_21:
	s_or_b32 exec_lo, exec_lo, s2
	s_delay_alu instid0(SALU_CYCLE_1)
	s_mov_b32 s2, exec_lo
	v_cmpx_o_f32_e32 v54, v54
	s_cbranch_execz .LBB12_23
; %bb.22:
	v_mul_f32_e32 v52, 0xbfb8aa3b, v54
	v_cmp_nlt_f32_e32 vcc_lo, 0x42ce8ed0, v54
	s_delay_alu instid0(VALU_DEP_2) | instskip(SKIP_1) | instid1(VALU_DEP_2)
	v_rndne_f32_e32 v53, v52
	v_fma_f32 v70, 0xbfb8aa3b, v54, -v52
	v_sub_f32_e32 v52, v52, v53
	s_delay_alu instid0(VALU_DEP_2) | instskip(SKIP_1) | instid1(VALU_DEP_2)
	v_fmamk_f32 v70, v54, 0xb2a5705f, v70
	v_cvt_i32_f32_e32 v53, v53
	v_add_f32_e32 v52, v52, v70
	s_delay_alu instid0(VALU_DEP_1) | instskip(SKIP_2) | instid1(VALU_DEP_1)
	v_exp_f32_e32 v52, v52
	s_waitcnt_depctr 0xfff
	v_ldexp_f32 v52, v52, v53
	v_cndmask_b32_e32 v52, 0, v52, vcc_lo
	v_cmp_ngt_f32_e32 vcc_lo, 0xc2b17218, v54
	s_delay_alu instid0(VALU_DEP_2) | instskip(NEXT) | instid1(VALU_DEP_1)
	v_cndmask_b32_e32 v52, 0x7f800000, v52, vcc_lo
	v_add_f32_e32 v52, 1.0, v52
	s_delay_alu instid0(VALU_DEP_1) | instskip(NEXT) | instid1(VALU_DEP_1)
	v_div_scale_f32 v53, null, v52, v52, 1.0
	v_rcp_f32_e32 v54, v53
	s_waitcnt_depctr 0xfff
	v_fma_f32 v70, -v53, v54, 1.0
	s_delay_alu instid0(VALU_DEP_1) | instskip(SKIP_1) | instid1(VALU_DEP_1)
	v_fmac_f32_e32 v54, v70, v54
	v_div_scale_f32 v70, vcc_lo, 1.0, v52, 1.0
	v_mul_f32_e32 v71, v70, v54
	s_delay_alu instid0(VALU_DEP_1) | instskip(NEXT) | instid1(VALU_DEP_1)
	v_fma_f32 v72, -v53, v71, v70
	v_fmac_f32_e32 v71, v72, v54
	s_delay_alu instid0(VALU_DEP_1) | instskip(NEXT) | instid1(VALU_DEP_1)
	v_fma_f32 v53, -v53, v71, v70
	v_div_fmas_f32 v53, v53, v54, v71
	s_delay_alu instid0(VALU_DEP_1)
	v_div_fixup_f32 v52, v53, v52, 1.0
.LBB12_23:
	s_or_b32 exec_lo, exec_lo, s2
	v_dual_mov_b32 v53, 0 :: v_dual_mov_b32 v54, 0
	s_mov_b32 s2, exec_lo
	v_cmpx_o_f32_e32 v55, v55
	s_cbranch_execz .LBB12_25
; %bb.24:
	v_mul_f32_e32 v54, 0xbfb8aa3b, v55
	v_cmp_nlt_f32_e32 vcc_lo, 0x42ce8ed0, v55
	s_delay_alu instid0(VALU_DEP_2) | instskip(SKIP_1) | instid1(VALU_DEP_1)
	v_rndne_f32_e32 v70, v54
	v_fma_f32 v71, 0xbfb8aa3b, v55, -v54
	v_dual_sub_f32 v54, v54, v70 :: v_dual_fmamk_f32 v71, v55, 0xb2a5705f, v71
	v_cvt_i32_f32_e32 v70, v70
	s_delay_alu instid0(VALU_DEP_2) | instskip(NEXT) | instid1(VALU_DEP_1)
	v_add_f32_e32 v54, v54, v71
	v_exp_f32_e32 v54, v54
	s_waitcnt_depctr 0xfff
	v_ldexp_f32 v54, v54, v70
	s_delay_alu instid0(VALU_DEP_1) | instskip(SKIP_1) | instid1(VALU_DEP_2)
	v_cndmask_b32_e32 v54, 0, v54, vcc_lo
	v_cmp_ngt_f32_e32 vcc_lo, 0xc2b17218, v55
	v_cndmask_b32_e32 v54, 0x7f800000, v54, vcc_lo
	s_delay_alu instid0(VALU_DEP_1) | instskip(NEXT) | instid1(VALU_DEP_1)
	v_add_f32_e32 v54, 1.0, v54
	v_div_scale_f32 v55, null, v54, v54, 1.0
	s_delay_alu instid0(VALU_DEP_1) | instskip(SKIP_2) | instid1(VALU_DEP_1)
	v_rcp_f32_e32 v70, v55
	s_waitcnt_depctr 0xfff
	v_fma_f32 v71, -v55, v70, 1.0
	v_fmac_f32_e32 v70, v71, v70
	v_div_scale_f32 v71, vcc_lo, 1.0, v54, 1.0
	s_delay_alu instid0(VALU_DEP_1) | instskip(NEXT) | instid1(VALU_DEP_1)
	v_mul_f32_e32 v72, v71, v70
	v_fma_f32 v73, -v55, v72, v71
	s_delay_alu instid0(VALU_DEP_1) | instskip(NEXT) | instid1(VALU_DEP_1)
	v_fmac_f32_e32 v72, v73, v70
	v_fma_f32 v55, -v55, v72, v71
	s_delay_alu instid0(VALU_DEP_1) | instskip(NEXT) | instid1(VALU_DEP_1)
	v_div_fmas_f32 v55, v55, v70, v72
	v_div_fixup_f32 v54, v55, v54, 1.0
.LBB12_25:
	s_or_b32 exec_lo, exec_lo, s2
	s_delay_alu instid0(SALU_CYCLE_1)
	s_mov_b32 s2, exec_lo
	v_cmpx_o_f32_e32 v48, v48
	s_cbranch_execz .LBB12_27
; %bb.26:
	v_mul_f32_e32 v53, 0xbfb8aa3b, v48
	v_cmp_nlt_f32_e32 vcc_lo, 0x42ce8ed0, v48
	s_delay_alu instid0(VALU_DEP_2) | instskip(SKIP_1) | instid1(VALU_DEP_1)
	v_rndne_f32_e32 v55, v53
	v_fma_f32 v70, 0xbfb8aa3b, v48, -v53
	v_dual_sub_f32 v53, v53, v55 :: v_dual_fmamk_f32 v70, v48, 0xb2a5705f, v70
	v_cvt_i32_f32_e32 v55, v55
	s_delay_alu instid0(VALU_DEP_2) | instskip(NEXT) | instid1(VALU_DEP_1)
	v_add_f32_e32 v53, v53, v70
	v_exp_f32_e32 v53, v53
	s_waitcnt_depctr 0xfff
	v_ldexp_f32 v53, v53, v55
	s_delay_alu instid0(VALU_DEP_1) | instskip(SKIP_1) | instid1(VALU_DEP_2)
	v_cndmask_b32_e32 v53, 0, v53, vcc_lo
	v_cmp_ngt_f32_e32 vcc_lo, 0xc2b17218, v48
	v_cndmask_b32_e32 v48, 0x7f800000, v53, vcc_lo
	s_delay_alu instid0(VALU_DEP_1) | instskip(NEXT) | instid1(VALU_DEP_1)
	v_add_f32_e32 v48, 1.0, v48
	v_div_scale_f32 v53, null, v48, v48, 1.0
	s_delay_alu instid0(VALU_DEP_1) | instskip(SKIP_2) | instid1(VALU_DEP_1)
	v_rcp_f32_e32 v55, v53
	s_waitcnt_depctr 0xfff
	v_fma_f32 v70, -v53, v55, 1.0
	v_fmac_f32_e32 v55, v70, v55
	v_div_scale_f32 v70, vcc_lo, 1.0, v48, 1.0
	s_delay_alu instid0(VALU_DEP_1) | instskip(NEXT) | instid1(VALU_DEP_1)
	v_mul_f32_e32 v71, v70, v55
	v_fma_f32 v72, -v53, v71, v70
	s_delay_alu instid0(VALU_DEP_1) | instskip(NEXT) | instid1(VALU_DEP_1)
	v_fmac_f32_e32 v71, v72, v55
	v_fma_f32 v53, -v53, v71, v70
	s_delay_alu instid0(VALU_DEP_1) | instskip(NEXT) | instid1(VALU_DEP_1)
	v_div_fmas_f32 v53, v53, v55, v71
	v_div_fixup_f32 v53, v53, v48, 1.0
.LBB12_27:
	s_or_b32 exec_lo, exec_lo, s2
	v_dual_mov_b32 v48, 0 :: v_dual_mov_b32 v55, 0
	s_mov_b32 s2, exec_lo
	v_cmpx_o_f32_e32 v49, v49
	s_cbranch_execz .LBB12_29
; %bb.28:
	v_mul_f32_e32 v55, 0xbfb8aa3b, v49
	v_cmp_nlt_f32_e32 vcc_lo, 0x42ce8ed0, v49
	s_delay_alu instid0(VALU_DEP_2) | instskip(SKIP_1) | instid1(VALU_DEP_2)
	v_rndne_f32_e32 v70, v55
	v_fma_f32 v71, 0xbfb8aa3b, v49, -v55
	v_sub_f32_e32 v55, v55, v70
	s_delay_alu instid0(VALU_DEP_2) | instskip(SKIP_1) | instid1(VALU_DEP_2)
	v_fmamk_f32 v71, v49, 0xb2a5705f, v71
	v_cvt_i32_f32_e32 v70, v70
	v_add_f32_e32 v55, v55, v71
	s_delay_alu instid0(VALU_DEP_1) | instskip(SKIP_2) | instid1(VALU_DEP_1)
	v_exp_f32_e32 v55, v55
	s_waitcnt_depctr 0xfff
	v_ldexp_f32 v55, v55, v70
	v_cndmask_b32_e32 v55, 0, v55, vcc_lo
	v_cmp_ngt_f32_e32 vcc_lo, 0xc2b17218, v49
	s_delay_alu instid0(VALU_DEP_2) | instskip(NEXT) | instid1(VALU_DEP_1)
	v_cndmask_b32_e32 v49, 0x7f800000, v55, vcc_lo
	v_add_f32_e32 v49, 1.0, v49
	s_delay_alu instid0(VALU_DEP_1) | instskip(NEXT) | instid1(VALU_DEP_1)
	v_div_scale_f32 v55, null, v49, v49, 1.0
	v_rcp_f32_e32 v70, v55
	s_waitcnt_depctr 0xfff
	v_fma_f32 v71, -v55, v70, 1.0
	s_delay_alu instid0(VALU_DEP_1) | instskip(SKIP_1) | instid1(VALU_DEP_1)
	v_fmac_f32_e32 v70, v71, v70
	v_div_scale_f32 v71, vcc_lo, 1.0, v49, 1.0
	v_mul_f32_e32 v72, v71, v70
	s_delay_alu instid0(VALU_DEP_1) | instskip(NEXT) | instid1(VALU_DEP_1)
	v_fma_f32 v73, -v55, v72, v71
	v_fmac_f32_e32 v72, v73, v70
	s_delay_alu instid0(VALU_DEP_1) | instskip(NEXT) | instid1(VALU_DEP_1)
	v_fma_f32 v55, -v55, v72, v71
	v_div_fmas_f32 v55, v55, v70, v72
	s_delay_alu instid0(VALU_DEP_1)
	v_div_fixup_f32 v55, v55, v49, 1.0
.LBB12_29:
	s_or_b32 exec_lo, exec_lo, s2
	s_delay_alu instid0(SALU_CYCLE_1)
	s_mov_b32 s2, exec_lo
	v_cmpx_o_f32_e32 v50, v50
	s_cbranch_execz .LBB12_31
; %bb.30:
	v_mul_f32_e32 v48, 0xbfb8aa3b, v50
	v_cmp_nlt_f32_e32 vcc_lo, 0x42ce8ed0, v50
	s_delay_alu instid0(VALU_DEP_2) | instskip(SKIP_1) | instid1(VALU_DEP_2)
	v_rndne_f32_e32 v49, v48
	v_fma_f32 v70, 0xbfb8aa3b, v50, -v48
	v_sub_f32_e32 v48, v48, v49
	s_delay_alu instid0(VALU_DEP_2) | instskip(SKIP_1) | instid1(VALU_DEP_2)
	v_fmamk_f32 v70, v50, 0xb2a5705f, v70
	v_cvt_i32_f32_e32 v49, v49
	v_add_f32_e32 v48, v48, v70
	s_delay_alu instid0(VALU_DEP_1) | instskip(SKIP_2) | instid1(VALU_DEP_1)
	v_exp_f32_e32 v48, v48
	s_waitcnt_depctr 0xfff
	v_ldexp_f32 v48, v48, v49
	v_cndmask_b32_e32 v48, 0, v48, vcc_lo
	v_cmp_ngt_f32_e32 vcc_lo, 0xc2b17218, v50
	s_delay_alu instid0(VALU_DEP_2) | instskip(NEXT) | instid1(VALU_DEP_1)
	v_cndmask_b32_e32 v48, 0x7f800000, v48, vcc_lo
	v_add_f32_e32 v48, 1.0, v48
	s_delay_alu instid0(VALU_DEP_1) | instskip(NEXT) | instid1(VALU_DEP_1)
	v_div_scale_f32 v49, null, v48, v48, 1.0
	v_rcp_f32_e32 v50, v49
	s_waitcnt_depctr 0xfff
	v_fma_f32 v70, -v49, v50, 1.0
	s_delay_alu instid0(VALU_DEP_1) | instskip(SKIP_1) | instid1(VALU_DEP_1)
	v_fmac_f32_e32 v50, v70, v50
	v_div_scale_f32 v70, vcc_lo, 1.0, v48, 1.0
	v_mul_f32_e32 v71, v70, v50
	s_delay_alu instid0(VALU_DEP_1) | instskip(NEXT) | instid1(VALU_DEP_1)
	v_fma_f32 v72, -v49, v71, v70
	v_fmac_f32_e32 v71, v72, v50
	s_delay_alu instid0(VALU_DEP_1) | instskip(NEXT) | instid1(VALU_DEP_1)
	v_fma_f32 v49, -v49, v71, v70
	v_div_fmas_f32 v49, v49, v50, v71
	s_delay_alu instid0(VALU_DEP_1)
	v_div_fixup_f32 v48, v49, v48, 1.0
.LBB12_31:
	s_or_b32 exec_lo, exec_lo, s2
	v_dual_mov_b32 v49, 0 :: v_dual_mov_b32 v50, 0
	s_mov_b32 s2, exec_lo
	v_cmpx_o_f32_e32 v51, v51
	s_cbranch_execz .LBB12_33
; %bb.32:
	v_mul_f32_e32 v50, 0xbfb8aa3b, v51
	v_cmp_nlt_f32_e32 vcc_lo, 0x42ce8ed0, v51
	s_delay_alu instid0(VALU_DEP_2) | instskip(SKIP_1) | instid1(VALU_DEP_1)
	v_rndne_f32_e32 v70, v50
	v_fma_f32 v71, 0xbfb8aa3b, v51, -v50
	v_dual_sub_f32 v50, v50, v70 :: v_dual_fmamk_f32 v71, v51, 0xb2a5705f, v71
	v_cvt_i32_f32_e32 v70, v70
	s_delay_alu instid0(VALU_DEP_2) | instskip(NEXT) | instid1(VALU_DEP_1)
	v_add_f32_e32 v50, v50, v71
	v_exp_f32_e32 v50, v50
	s_waitcnt_depctr 0xfff
	v_ldexp_f32 v50, v50, v70
	s_delay_alu instid0(VALU_DEP_1) | instskip(SKIP_1) | instid1(VALU_DEP_2)
	v_cndmask_b32_e32 v50, 0, v50, vcc_lo
	v_cmp_ngt_f32_e32 vcc_lo, 0xc2b17218, v51
	v_cndmask_b32_e32 v50, 0x7f800000, v50, vcc_lo
	s_delay_alu instid0(VALU_DEP_1) | instskip(NEXT) | instid1(VALU_DEP_1)
	v_add_f32_e32 v50, 1.0, v50
	v_div_scale_f32 v51, null, v50, v50, 1.0
	s_delay_alu instid0(VALU_DEP_1) | instskip(SKIP_2) | instid1(VALU_DEP_1)
	v_rcp_f32_e32 v70, v51
	s_waitcnt_depctr 0xfff
	v_fma_f32 v71, -v51, v70, 1.0
	v_fmac_f32_e32 v70, v71, v70
	v_div_scale_f32 v71, vcc_lo, 1.0, v50, 1.0
	s_delay_alu instid0(VALU_DEP_1) | instskip(NEXT) | instid1(VALU_DEP_1)
	v_mul_f32_e32 v72, v71, v70
	v_fma_f32 v73, -v51, v72, v71
	s_delay_alu instid0(VALU_DEP_1) | instskip(NEXT) | instid1(VALU_DEP_1)
	v_fmac_f32_e32 v72, v73, v70
	v_fma_f32 v51, -v51, v72, v71
	s_delay_alu instid0(VALU_DEP_1) | instskip(NEXT) | instid1(VALU_DEP_1)
	v_div_fmas_f32 v51, v51, v70, v72
	v_div_fixup_f32 v50, v51, v50, 1.0
.LBB12_33:
	s_or_b32 exec_lo, exec_lo, s2
	s_delay_alu instid0(SALU_CYCLE_1)
	s_mov_b32 s2, exec_lo
	v_cmpx_o_f32_e32 v44, v44
	s_cbranch_execz .LBB12_35
; %bb.34:
	v_mul_f32_e32 v49, 0xbfb8aa3b, v44
	v_cmp_nlt_f32_e32 vcc_lo, 0x42ce8ed0, v44
	s_delay_alu instid0(VALU_DEP_2) | instskip(SKIP_1) | instid1(VALU_DEP_1)
	v_rndne_f32_e32 v51, v49
	v_fma_f32 v70, 0xbfb8aa3b, v44, -v49
	v_dual_sub_f32 v49, v49, v51 :: v_dual_fmamk_f32 v70, v44, 0xb2a5705f, v70
	v_cvt_i32_f32_e32 v51, v51
	s_delay_alu instid0(VALU_DEP_2) | instskip(NEXT) | instid1(VALU_DEP_1)
	v_add_f32_e32 v49, v49, v70
	v_exp_f32_e32 v49, v49
	s_waitcnt_depctr 0xfff
	v_ldexp_f32 v49, v49, v51
	s_delay_alu instid0(VALU_DEP_1) | instskip(SKIP_1) | instid1(VALU_DEP_2)
	v_cndmask_b32_e32 v49, 0, v49, vcc_lo
	v_cmp_ngt_f32_e32 vcc_lo, 0xc2b17218, v44
	v_cndmask_b32_e32 v44, 0x7f800000, v49, vcc_lo
	s_delay_alu instid0(VALU_DEP_1) | instskip(NEXT) | instid1(VALU_DEP_1)
	v_add_f32_e32 v44, 1.0, v44
	v_div_scale_f32 v49, null, v44, v44, 1.0
	s_delay_alu instid0(VALU_DEP_1) | instskip(SKIP_2) | instid1(VALU_DEP_1)
	v_rcp_f32_e32 v51, v49
	s_waitcnt_depctr 0xfff
	v_fma_f32 v70, -v49, v51, 1.0
	v_fmac_f32_e32 v51, v70, v51
	v_div_scale_f32 v70, vcc_lo, 1.0, v44, 1.0
	s_delay_alu instid0(VALU_DEP_1) | instskip(NEXT) | instid1(VALU_DEP_1)
	v_mul_f32_e32 v71, v70, v51
	v_fma_f32 v72, -v49, v71, v70
	s_delay_alu instid0(VALU_DEP_1) | instskip(NEXT) | instid1(VALU_DEP_1)
	v_fmac_f32_e32 v71, v72, v51
	v_fma_f32 v49, -v49, v71, v70
	s_delay_alu instid0(VALU_DEP_1) | instskip(NEXT) | instid1(VALU_DEP_1)
	v_div_fmas_f32 v49, v49, v51, v71
	v_div_fixup_f32 v49, v49, v44, 1.0
.LBB12_35:
	s_or_b32 exec_lo, exec_lo, s2
	v_dual_mov_b32 v44, 0 :: v_dual_mov_b32 v51, 0
	s_mov_b32 s2, exec_lo
	v_cmpx_o_f32_e32 v45, v45
	s_cbranch_execz .LBB12_37
; %bb.36:
	v_mul_f32_e32 v51, 0xbfb8aa3b, v45
	v_cmp_nlt_f32_e32 vcc_lo, 0x42ce8ed0, v45
	s_delay_alu instid0(VALU_DEP_2) | instskip(SKIP_1) | instid1(VALU_DEP_2)
	v_rndne_f32_e32 v70, v51
	v_fma_f32 v71, 0xbfb8aa3b, v45, -v51
	v_sub_f32_e32 v51, v51, v70
	s_delay_alu instid0(VALU_DEP_2) | instskip(SKIP_1) | instid1(VALU_DEP_2)
	v_fmamk_f32 v71, v45, 0xb2a5705f, v71
	v_cvt_i32_f32_e32 v70, v70
	v_add_f32_e32 v51, v51, v71
	s_delay_alu instid0(VALU_DEP_1) | instskip(SKIP_2) | instid1(VALU_DEP_1)
	v_exp_f32_e32 v51, v51
	s_waitcnt_depctr 0xfff
	v_ldexp_f32 v51, v51, v70
	v_cndmask_b32_e32 v51, 0, v51, vcc_lo
	v_cmp_ngt_f32_e32 vcc_lo, 0xc2b17218, v45
	s_delay_alu instid0(VALU_DEP_2) | instskip(NEXT) | instid1(VALU_DEP_1)
	v_cndmask_b32_e32 v45, 0x7f800000, v51, vcc_lo
	v_add_f32_e32 v45, 1.0, v45
	s_delay_alu instid0(VALU_DEP_1) | instskip(NEXT) | instid1(VALU_DEP_1)
	v_div_scale_f32 v51, null, v45, v45, 1.0
	v_rcp_f32_e32 v70, v51
	s_waitcnt_depctr 0xfff
	v_fma_f32 v71, -v51, v70, 1.0
	s_delay_alu instid0(VALU_DEP_1) | instskip(SKIP_1) | instid1(VALU_DEP_1)
	v_fmac_f32_e32 v70, v71, v70
	v_div_scale_f32 v71, vcc_lo, 1.0, v45, 1.0
	v_mul_f32_e32 v72, v71, v70
	s_delay_alu instid0(VALU_DEP_1) | instskip(NEXT) | instid1(VALU_DEP_1)
	v_fma_f32 v73, -v51, v72, v71
	v_fmac_f32_e32 v72, v73, v70
	s_delay_alu instid0(VALU_DEP_1) | instskip(NEXT) | instid1(VALU_DEP_1)
	v_fma_f32 v51, -v51, v72, v71
	v_div_fmas_f32 v51, v51, v70, v72
	s_delay_alu instid0(VALU_DEP_1)
	v_div_fixup_f32 v51, v51, v45, 1.0
.LBB12_37:
	s_or_b32 exec_lo, exec_lo, s2
	s_delay_alu instid0(SALU_CYCLE_1)
	s_mov_b32 s2, exec_lo
	v_cmpx_o_f32_e32 v46, v46
	s_cbranch_execz .LBB12_39
; %bb.38:
	v_mul_f32_e32 v44, 0xbfb8aa3b, v46
	v_cmp_nlt_f32_e32 vcc_lo, 0x42ce8ed0, v46
	s_delay_alu instid0(VALU_DEP_2) | instskip(SKIP_1) | instid1(VALU_DEP_2)
	v_rndne_f32_e32 v45, v44
	v_fma_f32 v70, 0xbfb8aa3b, v46, -v44
	v_sub_f32_e32 v44, v44, v45
	s_delay_alu instid0(VALU_DEP_2) | instskip(SKIP_1) | instid1(VALU_DEP_2)
	v_fmamk_f32 v70, v46, 0xb2a5705f, v70
	v_cvt_i32_f32_e32 v45, v45
	v_add_f32_e32 v44, v44, v70
	s_delay_alu instid0(VALU_DEP_1) | instskip(SKIP_2) | instid1(VALU_DEP_1)
	v_exp_f32_e32 v44, v44
	s_waitcnt_depctr 0xfff
	v_ldexp_f32 v44, v44, v45
	v_cndmask_b32_e32 v44, 0, v44, vcc_lo
	v_cmp_ngt_f32_e32 vcc_lo, 0xc2b17218, v46
	s_delay_alu instid0(VALU_DEP_2) | instskip(NEXT) | instid1(VALU_DEP_1)
	v_cndmask_b32_e32 v44, 0x7f800000, v44, vcc_lo
	v_add_f32_e32 v44, 1.0, v44
	s_delay_alu instid0(VALU_DEP_1) | instskip(NEXT) | instid1(VALU_DEP_1)
	v_div_scale_f32 v45, null, v44, v44, 1.0
	v_rcp_f32_e32 v46, v45
	s_waitcnt_depctr 0xfff
	v_fma_f32 v70, -v45, v46, 1.0
	s_delay_alu instid0(VALU_DEP_1) | instskip(SKIP_1) | instid1(VALU_DEP_1)
	v_fmac_f32_e32 v46, v70, v46
	v_div_scale_f32 v70, vcc_lo, 1.0, v44, 1.0
	v_mul_f32_e32 v71, v70, v46
	s_delay_alu instid0(VALU_DEP_1) | instskip(NEXT) | instid1(VALU_DEP_1)
	v_fma_f32 v72, -v45, v71, v70
	v_fmac_f32_e32 v71, v72, v46
	s_delay_alu instid0(VALU_DEP_1) | instskip(NEXT) | instid1(VALU_DEP_1)
	v_fma_f32 v45, -v45, v71, v70
	v_div_fmas_f32 v45, v45, v46, v71
	s_delay_alu instid0(VALU_DEP_1)
	v_div_fixup_f32 v44, v45, v44, 1.0
.LBB12_39:
	s_or_b32 exec_lo, exec_lo, s2
	v_dual_mov_b32 v45, 0 :: v_dual_mov_b32 v46, 0
	s_mov_b32 s2, exec_lo
	v_cmpx_o_f32_e32 v47, v47
	s_cbranch_execz .LBB12_41
; %bb.40:
	v_mul_f32_e32 v46, 0xbfb8aa3b, v47
	v_cmp_nlt_f32_e32 vcc_lo, 0x42ce8ed0, v47
	s_delay_alu instid0(VALU_DEP_2) | instskip(SKIP_1) | instid1(VALU_DEP_1)
	v_rndne_f32_e32 v70, v46
	v_fma_f32 v71, 0xbfb8aa3b, v47, -v46
	v_dual_sub_f32 v46, v46, v70 :: v_dual_fmamk_f32 v71, v47, 0xb2a5705f, v71
	v_cvt_i32_f32_e32 v70, v70
	s_delay_alu instid0(VALU_DEP_2) | instskip(NEXT) | instid1(VALU_DEP_1)
	v_add_f32_e32 v46, v46, v71
	v_exp_f32_e32 v46, v46
	s_waitcnt_depctr 0xfff
	v_ldexp_f32 v46, v46, v70
	s_delay_alu instid0(VALU_DEP_1) | instskip(SKIP_1) | instid1(VALU_DEP_2)
	v_cndmask_b32_e32 v46, 0, v46, vcc_lo
	v_cmp_ngt_f32_e32 vcc_lo, 0xc2b17218, v47
	v_cndmask_b32_e32 v46, 0x7f800000, v46, vcc_lo
	s_delay_alu instid0(VALU_DEP_1) | instskip(NEXT) | instid1(VALU_DEP_1)
	v_add_f32_e32 v46, 1.0, v46
	v_div_scale_f32 v47, null, v46, v46, 1.0
	s_delay_alu instid0(VALU_DEP_1) | instskip(SKIP_2) | instid1(VALU_DEP_1)
	v_rcp_f32_e32 v70, v47
	s_waitcnt_depctr 0xfff
	v_fma_f32 v71, -v47, v70, 1.0
	v_fmac_f32_e32 v70, v71, v70
	v_div_scale_f32 v71, vcc_lo, 1.0, v46, 1.0
	s_delay_alu instid0(VALU_DEP_1) | instskip(NEXT) | instid1(VALU_DEP_1)
	v_mul_f32_e32 v72, v71, v70
	v_fma_f32 v73, -v47, v72, v71
	s_delay_alu instid0(VALU_DEP_1) | instskip(NEXT) | instid1(VALU_DEP_1)
	v_fmac_f32_e32 v72, v73, v70
	v_fma_f32 v47, -v47, v72, v71
	s_delay_alu instid0(VALU_DEP_1) | instskip(NEXT) | instid1(VALU_DEP_1)
	v_div_fmas_f32 v47, v47, v70, v72
	v_div_fixup_f32 v46, v47, v46, 1.0
.LBB12_41:
	s_or_b32 exec_lo, exec_lo, s2
	s_delay_alu instid0(SALU_CYCLE_1)
	s_mov_b32 s2, exec_lo
	v_cmpx_o_f32_e32 v40, v40
	s_cbranch_execz .LBB12_43
; %bb.42:
	v_mul_f32_e32 v45, 0xbfb8aa3b, v40
	v_cmp_nlt_f32_e32 vcc_lo, 0x42ce8ed0, v40
	s_delay_alu instid0(VALU_DEP_2) | instskip(SKIP_1) | instid1(VALU_DEP_1)
	v_rndne_f32_e32 v47, v45
	v_fma_f32 v70, 0xbfb8aa3b, v40, -v45
	v_dual_sub_f32 v45, v45, v47 :: v_dual_fmamk_f32 v70, v40, 0xb2a5705f, v70
	v_cvt_i32_f32_e32 v47, v47
	s_delay_alu instid0(VALU_DEP_2) | instskip(NEXT) | instid1(VALU_DEP_1)
	v_add_f32_e32 v45, v45, v70
	v_exp_f32_e32 v45, v45
	s_waitcnt_depctr 0xfff
	v_ldexp_f32 v45, v45, v47
	s_delay_alu instid0(VALU_DEP_1) | instskip(SKIP_1) | instid1(VALU_DEP_2)
	v_cndmask_b32_e32 v45, 0, v45, vcc_lo
	v_cmp_ngt_f32_e32 vcc_lo, 0xc2b17218, v40
	v_cndmask_b32_e32 v40, 0x7f800000, v45, vcc_lo
	s_delay_alu instid0(VALU_DEP_1) | instskip(NEXT) | instid1(VALU_DEP_1)
	v_add_f32_e32 v40, 1.0, v40
	v_div_scale_f32 v45, null, v40, v40, 1.0
	s_delay_alu instid0(VALU_DEP_1) | instskip(SKIP_2) | instid1(VALU_DEP_1)
	v_rcp_f32_e32 v47, v45
	s_waitcnt_depctr 0xfff
	v_fma_f32 v70, -v45, v47, 1.0
	v_fmac_f32_e32 v47, v70, v47
	v_div_scale_f32 v70, vcc_lo, 1.0, v40, 1.0
	s_delay_alu instid0(VALU_DEP_1) | instskip(NEXT) | instid1(VALU_DEP_1)
	v_mul_f32_e32 v71, v70, v47
	v_fma_f32 v72, -v45, v71, v70
	s_delay_alu instid0(VALU_DEP_1) | instskip(NEXT) | instid1(VALU_DEP_1)
	v_fmac_f32_e32 v71, v72, v47
	v_fma_f32 v45, -v45, v71, v70
	s_delay_alu instid0(VALU_DEP_1) | instskip(NEXT) | instid1(VALU_DEP_1)
	v_div_fmas_f32 v45, v45, v47, v71
	v_div_fixup_f32 v45, v45, v40, 1.0
.LBB12_43:
	s_or_b32 exec_lo, exec_lo, s2
	v_dual_mov_b32 v40, 0 :: v_dual_mov_b32 v47, 0
	s_mov_b32 s2, exec_lo
	v_cmpx_o_f32_e32 v41, v41
	s_cbranch_execz .LBB12_45
; %bb.44:
	v_mul_f32_e32 v47, 0xbfb8aa3b, v41
	v_cmp_nlt_f32_e32 vcc_lo, 0x42ce8ed0, v41
	s_delay_alu instid0(VALU_DEP_2) | instskip(SKIP_1) | instid1(VALU_DEP_2)
	v_rndne_f32_e32 v70, v47
	v_fma_f32 v71, 0xbfb8aa3b, v41, -v47
	v_sub_f32_e32 v47, v47, v70
	s_delay_alu instid0(VALU_DEP_2) | instskip(SKIP_1) | instid1(VALU_DEP_2)
	v_fmamk_f32 v71, v41, 0xb2a5705f, v71
	v_cvt_i32_f32_e32 v70, v70
	v_add_f32_e32 v47, v47, v71
	s_delay_alu instid0(VALU_DEP_1) | instskip(SKIP_2) | instid1(VALU_DEP_1)
	v_exp_f32_e32 v47, v47
	s_waitcnt_depctr 0xfff
	v_ldexp_f32 v47, v47, v70
	v_cndmask_b32_e32 v47, 0, v47, vcc_lo
	v_cmp_ngt_f32_e32 vcc_lo, 0xc2b17218, v41
	s_delay_alu instid0(VALU_DEP_2) | instskip(NEXT) | instid1(VALU_DEP_1)
	v_cndmask_b32_e32 v41, 0x7f800000, v47, vcc_lo
	v_add_f32_e32 v41, 1.0, v41
	s_delay_alu instid0(VALU_DEP_1) | instskip(NEXT) | instid1(VALU_DEP_1)
	v_div_scale_f32 v47, null, v41, v41, 1.0
	v_rcp_f32_e32 v70, v47
	s_waitcnt_depctr 0xfff
	v_fma_f32 v71, -v47, v70, 1.0
	s_delay_alu instid0(VALU_DEP_1) | instskip(SKIP_1) | instid1(VALU_DEP_1)
	v_fmac_f32_e32 v70, v71, v70
	v_div_scale_f32 v71, vcc_lo, 1.0, v41, 1.0
	v_mul_f32_e32 v72, v71, v70
	s_delay_alu instid0(VALU_DEP_1) | instskip(NEXT) | instid1(VALU_DEP_1)
	v_fma_f32 v73, -v47, v72, v71
	v_fmac_f32_e32 v72, v73, v70
	s_delay_alu instid0(VALU_DEP_1) | instskip(NEXT) | instid1(VALU_DEP_1)
	v_fma_f32 v47, -v47, v72, v71
	v_div_fmas_f32 v47, v47, v70, v72
	s_delay_alu instid0(VALU_DEP_1)
	v_div_fixup_f32 v47, v47, v41, 1.0
.LBB12_45:
	s_or_b32 exec_lo, exec_lo, s2
	s_delay_alu instid0(SALU_CYCLE_1)
	s_mov_b32 s2, exec_lo
	v_cmpx_o_f32_e32 v42, v42
	s_cbranch_execz .LBB12_47
; %bb.46:
	v_mul_f32_e32 v40, 0xbfb8aa3b, v42
	v_cmp_nlt_f32_e32 vcc_lo, 0x42ce8ed0, v42
	s_delay_alu instid0(VALU_DEP_2) | instskip(SKIP_1) | instid1(VALU_DEP_2)
	v_rndne_f32_e32 v41, v40
	v_fma_f32 v70, 0xbfb8aa3b, v42, -v40
	v_sub_f32_e32 v40, v40, v41
	s_delay_alu instid0(VALU_DEP_2) | instskip(SKIP_1) | instid1(VALU_DEP_2)
	v_fmamk_f32 v70, v42, 0xb2a5705f, v70
	v_cvt_i32_f32_e32 v41, v41
	v_add_f32_e32 v40, v40, v70
	s_delay_alu instid0(VALU_DEP_1) | instskip(SKIP_2) | instid1(VALU_DEP_1)
	v_exp_f32_e32 v40, v40
	s_waitcnt_depctr 0xfff
	v_ldexp_f32 v40, v40, v41
	v_cndmask_b32_e32 v40, 0, v40, vcc_lo
	v_cmp_ngt_f32_e32 vcc_lo, 0xc2b17218, v42
	s_delay_alu instid0(VALU_DEP_2) | instskip(NEXT) | instid1(VALU_DEP_1)
	v_cndmask_b32_e32 v40, 0x7f800000, v40, vcc_lo
	v_add_f32_e32 v40, 1.0, v40
	s_delay_alu instid0(VALU_DEP_1) | instskip(NEXT) | instid1(VALU_DEP_1)
	v_div_scale_f32 v41, null, v40, v40, 1.0
	v_rcp_f32_e32 v42, v41
	s_waitcnt_depctr 0xfff
	v_fma_f32 v70, -v41, v42, 1.0
	s_delay_alu instid0(VALU_DEP_1) | instskip(SKIP_1) | instid1(VALU_DEP_1)
	v_fmac_f32_e32 v42, v70, v42
	v_div_scale_f32 v70, vcc_lo, 1.0, v40, 1.0
	v_mul_f32_e32 v71, v70, v42
	s_delay_alu instid0(VALU_DEP_1) | instskip(NEXT) | instid1(VALU_DEP_1)
	v_fma_f32 v72, -v41, v71, v70
	v_fmac_f32_e32 v71, v72, v42
	s_delay_alu instid0(VALU_DEP_1) | instskip(NEXT) | instid1(VALU_DEP_1)
	v_fma_f32 v41, -v41, v71, v70
	v_div_fmas_f32 v41, v41, v42, v71
	s_delay_alu instid0(VALU_DEP_1)
	v_div_fixup_f32 v40, v41, v40, 1.0
.LBB12_47:
	s_or_b32 exec_lo, exec_lo, s2
	v_dual_mov_b32 v41, 0 :: v_dual_mov_b32 v42, 0
	s_mov_b32 s2, exec_lo
	v_cmpx_o_f32_e32 v43, v43
	s_cbranch_execz .LBB12_49
; %bb.48:
	v_mul_f32_e32 v42, 0xbfb8aa3b, v43
	v_cmp_nlt_f32_e32 vcc_lo, 0x42ce8ed0, v43
	s_delay_alu instid0(VALU_DEP_2) | instskip(SKIP_1) | instid1(VALU_DEP_1)
	v_rndne_f32_e32 v70, v42
	v_fma_f32 v71, 0xbfb8aa3b, v43, -v42
	v_dual_sub_f32 v42, v42, v70 :: v_dual_fmamk_f32 v71, v43, 0xb2a5705f, v71
	v_cvt_i32_f32_e32 v70, v70
	s_delay_alu instid0(VALU_DEP_2) | instskip(NEXT) | instid1(VALU_DEP_1)
	v_add_f32_e32 v42, v42, v71
	v_exp_f32_e32 v42, v42
	s_waitcnt_depctr 0xfff
	v_ldexp_f32 v42, v42, v70
	s_delay_alu instid0(VALU_DEP_1) | instskip(SKIP_1) | instid1(VALU_DEP_2)
	v_cndmask_b32_e32 v42, 0, v42, vcc_lo
	v_cmp_ngt_f32_e32 vcc_lo, 0xc2b17218, v43
	v_cndmask_b32_e32 v42, 0x7f800000, v42, vcc_lo
	s_delay_alu instid0(VALU_DEP_1) | instskip(NEXT) | instid1(VALU_DEP_1)
	v_add_f32_e32 v42, 1.0, v42
	v_div_scale_f32 v43, null, v42, v42, 1.0
	s_delay_alu instid0(VALU_DEP_1) | instskip(SKIP_2) | instid1(VALU_DEP_1)
	v_rcp_f32_e32 v70, v43
	s_waitcnt_depctr 0xfff
	v_fma_f32 v71, -v43, v70, 1.0
	v_fmac_f32_e32 v70, v71, v70
	v_div_scale_f32 v71, vcc_lo, 1.0, v42, 1.0
	s_delay_alu instid0(VALU_DEP_1) | instskip(NEXT) | instid1(VALU_DEP_1)
	v_mul_f32_e32 v72, v71, v70
	v_fma_f32 v73, -v43, v72, v71
	s_delay_alu instid0(VALU_DEP_1) | instskip(NEXT) | instid1(VALU_DEP_1)
	v_fmac_f32_e32 v72, v73, v70
	v_fma_f32 v43, -v43, v72, v71
	s_delay_alu instid0(VALU_DEP_1) | instskip(NEXT) | instid1(VALU_DEP_1)
	v_div_fmas_f32 v43, v43, v70, v72
	v_div_fixup_f32 v42, v43, v42, 1.0
.LBB12_49:
	s_or_b32 exec_lo, exec_lo, s2
	s_delay_alu instid0(SALU_CYCLE_1)
	s_mov_b32 s2, exec_lo
	v_cmpx_o_f32_e32 v36, v36
	s_cbranch_execz .LBB12_51
; %bb.50:
	v_mul_f32_e32 v41, 0xbfb8aa3b, v36
	v_cmp_nlt_f32_e32 vcc_lo, 0x42ce8ed0, v36
	s_delay_alu instid0(VALU_DEP_2) | instskip(SKIP_1) | instid1(VALU_DEP_1)
	v_rndne_f32_e32 v43, v41
	v_fma_f32 v70, 0xbfb8aa3b, v36, -v41
	v_dual_sub_f32 v41, v41, v43 :: v_dual_fmamk_f32 v70, v36, 0xb2a5705f, v70
	v_cvt_i32_f32_e32 v43, v43
	s_delay_alu instid0(VALU_DEP_2) | instskip(NEXT) | instid1(VALU_DEP_1)
	v_add_f32_e32 v41, v41, v70
	v_exp_f32_e32 v41, v41
	s_waitcnt_depctr 0xfff
	v_ldexp_f32 v41, v41, v43
	s_delay_alu instid0(VALU_DEP_1) | instskip(SKIP_1) | instid1(VALU_DEP_2)
	v_cndmask_b32_e32 v41, 0, v41, vcc_lo
	v_cmp_ngt_f32_e32 vcc_lo, 0xc2b17218, v36
	v_cndmask_b32_e32 v36, 0x7f800000, v41, vcc_lo
	s_delay_alu instid0(VALU_DEP_1) | instskip(NEXT) | instid1(VALU_DEP_1)
	v_add_f32_e32 v36, 1.0, v36
	v_div_scale_f32 v41, null, v36, v36, 1.0
	s_delay_alu instid0(VALU_DEP_1) | instskip(SKIP_2) | instid1(VALU_DEP_1)
	v_rcp_f32_e32 v43, v41
	s_waitcnt_depctr 0xfff
	v_fma_f32 v70, -v41, v43, 1.0
	v_fmac_f32_e32 v43, v70, v43
	v_div_scale_f32 v70, vcc_lo, 1.0, v36, 1.0
	s_delay_alu instid0(VALU_DEP_1) | instskip(NEXT) | instid1(VALU_DEP_1)
	v_mul_f32_e32 v71, v70, v43
	v_fma_f32 v72, -v41, v71, v70
	s_delay_alu instid0(VALU_DEP_1) | instskip(NEXT) | instid1(VALU_DEP_1)
	v_fmac_f32_e32 v71, v72, v43
	v_fma_f32 v41, -v41, v71, v70
	s_delay_alu instid0(VALU_DEP_1) | instskip(NEXT) | instid1(VALU_DEP_1)
	v_div_fmas_f32 v41, v41, v43, v71
	v_div_fixup_f32 v41, v41, v36, 1.0
.LBB12_51:
	s_or_b32 exec_lo, exec_lo, s2
	v_dual_mov_b32 v36, 0 :: v_dual_mov_b32 v43, 0
	s_mov_b32 s2, exec_lo
	v_cmpx_o_f32_e32 v37, v37
	s_cbranch_execz .LBB12_53
; %bb.52:
	v_mul_f32_e32 v43, 0xbfb8aa3b, v37
	v_cmp_nlt_f32_e32 vcc_lo, 0x42ce8ed0, v37
	s_delay_alu instid0(VALU_DEP_2) | instskip(SKIP_1) | instid1(VALU_DEP_2)
	v_rndne_f32_e32 v70, v43
	v_fma_f32 v71, 0xbfb8aa3b, v37, -v43
	v_sub_f32_e32 v43, v43, v70
	s_delay_alu instid0(VALU_DEP_2) | instskip(SKIP_1) | instid1(VALU_DEP_2)
	v_fmamk_f32 v71, v37, 0xb2a5705f, v71
	v_cvt_i32_f32_e32 v70, v70
	v_add_f32_e32 v43, v43, v71
	s_delay_alu instid0(VALU_DEP_1) | instskip(SKIP_2) | instid1(VALU_DEP_1)
	v_exp_f32_e32 v43, v43
	s_waitcnt_depctr 0xfff
	v_ldexp_f32 v43, v43, v70
	v_cndmask_b32_e32 v43, 0, v43, vcc_lo
	v_cmp_ngt_f32_e32 vcc_lo, 0xc2b17218, v37
	s_delay_alu instid0(VALU_DEP_2) | instskip(NEXT) | instid1(VALU_DEP_1)
	v_cndmask_b32_e32 v37, 0x7f800000, v43, vcc_lo
	v_add_f32_e32 v37, 1.0, v37
	s_delay_alu instid0(VALU_DEP_1) | instskip(NEXT) | instid1(VALU_DEP_1)
	v_div_scale_f32 v43, null, v37, v37, 1.0
	v_rcp_f32_e32 v70, v43
	s_waitcnt_depctr 0xfff
	v_fma_f32 v71, -v43, v70, 1.0
	s_delay_alu instid0(VALU_DEP_1) | instskip(SKIP_1) | instid1(VALU_DEP_1)
	v_fmac_f32_e32 v70, v71, v70
	v_div_scale_f32 v71, vcc_lo, 1.0, v37, 1.0
	v_mul_f32_e32 v72, v71, v70
	s_delay_alu instid0(VALU_DEP_1) | instskip(NEXT) | instid1(VALU_DEP_1)
	v_fma_f32 v73, -v43, v72, v71
	v_fmac_f32_e32 v72, v73, v70
	s_delay_alu instid0(VALU_DEP_1) | instskip(NEXT) | instid1(VALU_DEP_1)
	v_fma_f32 v43, -v43, v72, v71
	v_div_fmas_f32 v43, v43, v70, v72
	s_delay_alu instid0(VALU_DEP_1)
	v_div_fixup_f32 v43, v43, v37, 1.0
.LBB12_53:
	s_or_b32 exec_lo, exec_lo, s2
	s_delay_alu instid0(SALU_CYCLE_1)
	s_mov_b32 s2, exec_lo
	v_cmpx_o_f32_e32 v38, v38
	s_cbranch_execz .LBB12_55
; %bb.54:
	v_mul_f32_e32 v36, 0xbfb8aa3b, v38
	v_cmp_nlt_f32_e32 vcc_lo, 0x42ce8ed0, v38
	s_delay_alu instid0(VALU_DEP_2) | instskip(SKIP_1) | instid1(VALU_DEP_2)
	v_rndne_f32_e32 v37, v36
	v_fma_f32 v70, 0xbfb8aa3b, v38, -v36
	v_sub_f32_e32 v36, v36, v37
	s_delay_alu instid0(VALU_DEP_2) | instskip(SKIP_1) | instid1(VALU_DEP_2)
	v_fmamk_f32 v70, v38, 0xb2a5705f, v70
	v_cvt_i32_f32_e32 v37, v37
	v_add_f32_e32 v36, v36, v70
	s_delay_alu instid0(VALU_DEP_1) | instskip(SKIP_2) | instid1(VALU_DEP_1)
	v_exp_f32_e32 v36, v36
	s_waitcnt_depctr 0xfff
	v_ldexp_f32 v36, v36, v37
	v_cndmask_b32_e32 v36, 0, v36, vcc_lo
	v_cmp_ngt_f32_e32 vcc_lo, 0xc2b17218, v38
	s_delay_alu instid0(VALU_DEP_2) | instskip(NEXT) | instid1(VALU_DEP_1)
	v_cndmask_b32_e32 v36, 0x7f800000, v36, vcc_lo
	v_add_f32_e32 v36, 1.0, v36
	s_delay_alu instid0(VALU_DEP_1) | instskip(NEXT) | instid1(VALU_DEP_1)
	v_div_scale_f32 v37, null, v36, v36, 1.0
	v_rcp_f32_e32 v38, v37
	s_waitcnt_depctr 0xfff
	v_fma_f32 v70, -v37, v38, 1.0
	s_delay_alu instid0(VALU_DEP_1) | instskip(SKIP_1) | instid1(VALU_DEP_1)
	v_fmac_f32_e32 v38, v70, v38
	v_div_scale_f32 v70, vcc_lo, 1.0, v36, 1.0
	v_mul_f32_e32 v71, v70, v38
	s_delay_alu instid0(VALU_DEP_1) | instskip(NEXT) | instid1(VALU_DEP_1)
	v_fma_f32 v72, -v37, v71, v70
	v_fmac_f32_e32 v71, v72, v38
	s_delay_alu instid0(VALU_DEP_1) | instskip(NEXT) | instid1(VALU_DEP_1)
	v_fma_f32 v37, -v37, v71, v70
	v_div_fmas_f32 v37, v37, v38, v71
	s_delay_alu instid0(VALU_DEP_1)
	v_div_fixup_f32 v36, v37, v36, 1.0
.LBB12_55:
	s_or_b32 exec_lo, exec_lo, s2
	v_dual_mov_b32 v37, 0 :: v_dual_mov_b32 v38, 0
	s_mov_b32 s2, exec_lo
	v_cmpx_o_f32_e32 v39, v39
	s_cbranch_execz .LBB12_57
; %bb.56:
	v_mul_f32_e32 v38, 0xbfb8aa3b, v39
	v_cmp_nlt_f32_e32 vcc_lo, 0x42ce8ed0, v39
	s_delay_alu instid0(VALU_DEP_2) | instskip(SKIP_1) | instid1(VALU_DEP_1)
	v_rndne_f32_e32 v70, v38
	v_fma_f32 v71, 0xbfb8aa3b, v39, -v38
	v_dual_sub_f32 v38, v38, v70 :: v_dual_fmamk_f32 v71, v39, 0xb2a5705f, v71
	v_cvt_i32_f32_e32 v70, v70
	s_delay_alu instid0(VALU_DEP_2) | instskip(NEXT) | instid1(VALU_DEP_1)
	v_add_f32_e32 v38, v38, v71
	v_exp_f32_e32 v38, v38
	s_waitcnt_depctr 0xfff
	v_ldexp_f32 v38, v38, v70
	s_delay_alu instid0(VALU_DEP_1) | instskip(SKIP_1) | instid1(VALU_DEP_2)
	v_cndmask_b32_e32 v38, 0, v38, vcc_lo
	v_cmp_ngt_f32_e32 vcc_lo, 0xc2b17218, v39
	v_cndmask_b32_e32 v38, 0x7f800000, v38, vcc_lo
	s_delay_alu instid0(VALU_DEP_1) | instskip(NEXT) | instid1(VALU_DEP_1)
	v_add_f32_e32 v38, 1.0, v38
	v_div_scale_f32 v39, null, v38, v38, 1.0
	s_delay_alu instid0(VALU_DEP_1) | instskip(SKIP_2) | instid1(VALU_DEP_1)
	v_rcp_f32_e32 v70, v39
	s_waitcnt_depctr 0xfff
	v_fma_f32 v71, -v39, v70, 1.0
	v_fmac_f32_e32 v70, v71, v70
	v_div_scale_f32 v71, vcc_lo, 1.0, v38, 1.0
	s_delay_alu instid0(VALU_DEP_1) | instskip(NEXT) | instid1(VALU_DEP_1)
	v_mul_f32_e32 v72, v71, v70
	v_fma_f32 v73, -v39, v72, v71
	s_delay_alu instid0(VALU_DEP_1) | instskip(NEXT) | instid1(VALU_DEP_1)
	v_fmac_f32_e32 v72, v73, v70
	v_fma_f32 v39, -v39, v72, v71
	s_delay_alu instid0(VALU_DEP_1) | instskip(NEXT) | instid1(VALU_DEP_1)
	v_div_fmas_f32 v39, v39, v70, v72
	v_div_fixup_f32 v38, v39, v38, 1.0
.LBB12_57:
	s_or_b32 exec_lo, exec_lo, s2
	s_delay_alu instid0(SALU_CYCLE_1)
	s_mov_b32 s2, exec_lo
	v_cmpx_o_f32_e32 v32, v32
	s_cbranch_execz .LBB12_59
; %bb.58:
	v_mul_f32_e32 v37, 0xbfb8aa3b, v32
	v_cmp_nlt_f32_e32 vcc_lo, 0x42ce8ed0, v32
	s_delay_alu instid0(VALU_DEP_2) | instskip(SKIP_1) | instid1(VALU_DEP_1)
	v_rndne_f32_e32 v39, v37
	v_fma_f32 v70, 0xbfb8aa3b, v32, -v37
	v_dual_sub_f32 v37, v37, v39 :: v_dual_fmamk_f32 v70, v32, 0xb2a5705f, v70
	v_cvt_i32_f32_e32 v39, v39
	s_delay_alu instid0(VALU_DEP_2) | instskip(NEXT) | instid1(VALU_DEP_1)
	v_add_f32_e32 v37, v37, v70
	v_exp_f32_e32 v37, v37
	s_waitcnt_depctr 0xfff
	v_ldexp_f32 v37, v37, v39
	s_delay_alu instid0(VALU_DEP_1) | instskip(SKIP_1) | instid1(VALU_DEP_2)
	v_cndmask_b32_e32 v37, 0, v37, vcc_lo
	v_cmp_ngt_f32_e32 vcc_lo, 0xc2b17218, v32
	v_cndmask_b32_e32 v32, 0x7f800000, v37, vcc_lo
	s_delay_alu instid0(VALU_DEP_1) | instskip(NEXT) | instid1(VALU_DEP_1)
	v_add_f32_e32 v32, 1.0, v32
	v_div_scale_f32 v37, null, v32, v32, 1.0
	s_delay_alu instid0(VALU_DEP_1) | instskip(SKIP_2) | instid1(VALU_DEP_1)
	v_rcp_f32_e32 v39, v37
	s_waitcnt_depctr 0xfff
	v_fma_f32 v70, -v37, v39, 1.0
	v_fmac_f32_e32 v39, v70, v39
	v_div_scale_f32 v70, vcc_lo, 1.0, v32, 1.0
	s_delay_alu instid0(VALU_DEP_1) | instskip(NEXT) | instid1(VALU_DEP_1)
	v_mul_f32_e32 v71, v70, v39
	v_fma_f32 v72, -v37, v71, v70
	s_delay_alu instid0(VALU_DEP_1) | instskip(NEXT) | instid1(VALU_DEP_1)
	v_fmac_f32_e32 v71, v72, v39
	v_fma_f32 v37, -v37, v71, v70
	s_delay_alu instid0(VALU_DEP_1) | instskip(NEXT) | instid1(VALU_DEP_1)
	v_div_fmas_f32 v37, v37, v39, v71
	v_div_fixup_f32 v37, v37, v32, 1.0
.LBB12_59:
	s_or_b32 exec_lo, exec_lo, s2
	v_dual_mov_b32 v32, 0 :: v_dual_mov_b32 v39, 0
	s_mov_b32 s2, exec_lo
	v_cmpx_o_f32_e32 v33, v33
	s_cbranch_execz .LBB12_61
; %bb.60:
	v_mul_f32_e32 v39, 0xbfb8aa3b, v33
	v_cmp_nlt_f32_e32 vcc_lo, 0x42ce8ed0, v33
	s_delay_alu instid0(VALU_DEP_2) | instskip(SKIP_1) | instid1(VALU_DEP_2)
	v_rndne_f32_e32 v70, v39
	v_fma_f32 v71, 0xbfb8aa3b, v33, -v39
	v_sub_f32_e32 v39, v39, v70
	s_delay_alu instid0(VALU_DEP_2) | instskip(SKIP_1) | instid1(VALU_DEP_2)
	v_fmamk_f32 v71, v33, 0xb2a5705f, v71
	v_cvt_i32_f32_e32 v70, v70
	v_add_f32_e32 v39, v39, v71
	s_delay_alu instid0(VALU_DEP_1) | instskip(SKIP_2) | instid1(VALU_DEP_1)
	v_exp_f32_e32 v39, v39
	s_waitcnt_depctr 0xfff
	v_ldexp_f32 v39, v39, v70
	v_cndmask_b32_e32 v39, 0, v39, vcc_lo
	v_cmp_ngt_f32_e32 vcc_lo, 0xc2b17218, v33
	s_delay_alu instid0(VALU_DEP_2) | instskip(NEXT) | instid1(VALU_DEP_1)
	v_cndmask_b32_e32 v33, 0x7f800000, v39, vcc_lo
	v_add_f32_e32 v33, 1.0, v33
	s_delay_alu instid0(VALU_DEP_1) | instskip(NEXT) | instid1(VALU_DEP_1)
	v_div_scale_f32 v39, null, v33, v33, 1.0
	v_rcp_f32_e32 v70, v39
	s_waitcnt_depctr 0xfff
	v_fma_f32 v71, -v39, v70, 1.0
	s_delay_alu instid0(VALU_DEP_1) | instskip(SKIP_1) | instid1(VALU_DEP_1)
	v_fmac_f32_e32 v70, v71, v70
	v_div_scale_f32 v71, vcc_lo, 1.0, v33, 1.0
	v_mul_f32_e32 v72, v71, v70
	s_delay_alu instid0(VALU_DEP_1) | instskip(NEXT) | instid1(VALU_DEP_1)
	v_fma_f32 v73, -v39, v72, v71
	v_fmac_f32_e32 v72, v73, v70
	s_delay_alu instid0(VALU_DEP_1) | instskip(NEXT) | instid1(VALU_DEP_1)
	v_fma_f32 v39, -v39, v72, v71
	v_div_fmas_f32 v39, v39, v70, v72
	s_delay_alu instid0(VALU_DEP_1)
	v_div_fixup_f32 v39, v39, v33, 1.0
.LBB12_61:
	s_or_b32 exec_lo, exec_lo, s2
	s_delay_alu instid0(SALU_CYCLE_1)
	s_mov_b32 s2, exec_lo
	v_cmpx_o_f32_e32 v34, v34
	s_cbranch_execz .LBB12_63
; %bb.62:
	v_mul_f32_e32 v32, 0xbfb8aa3b, v34
	v_cmp_nlt_f32_e32 vcc_lo, 0x42ce8ed0, v34
	s_delay_alu instid0(VALU_DEP_2) | instskip(SKIP_1) | instid1(VALU_DEP_2)
	v_rndne_f32_e32 v33, v32
	v_fma_f32 v70, 0xbfb8aa3b, v34, -v32
	v_sub_f32_e32 v32, v32, v33
	s_delay_alu instid0(VALU_DEP_2) | instskip(SKIP_1) | instid1(VALU_DEP_2)
	v_fmamk_f32 v70, v34, 0xb2a5705f, v70
	v_cvt_i32_f32_e32 v33, v33
	v_add_f32_e32 v32, v32, v70
	s_delay_alu instid0(VALU_DEP_1) | instskip(SKIP_2) | instid1(VALU_DEP_1)
	v_exp_f32_e32 v32, v32
	s_waitcnt_depctr 0xfff
	v_ldexp_f32 v32, v32, v33
	v_cndmask_b32_e32 v32, 0, v32, vcc_lo
	v_cmp_ngt_f32_e32 vcc_lo, 0xc2b17218, v34
	s_delay_alu instid0(VALU_DEP_2) | instskip(NEXT) | instid1(VALU_DEP_1)
	v_cndmask_b32_e32 v32, 0x7f800000, v32, vcc_lo
	v_add_f32_e32 v32, 1.0, v32
	s_delay_alu instid0(VALU_DEP_1) | instskip(NEXT) | instid1(VALU_DEP_1)
	v_div_scale_f32 v33, null, v32, v32, 1.0
	v_rcp_f32_e32 v34, v33
	s_waitcnt_depctr 0xfff
	v_fma_f32 v70, -v33, v34, 1.0
	s_delay_alu instid0(VALU_DEP_1) | instskip(SKIP_1) | instid1(VALU_DEP_1)
	v_fmac_f32_e32 v34, v70, v34
	v_div_scale_f32 v70, vcc_lo, 1.0, v32, 1.0
	v_mul_f32_e32 v71, v70, v34
	s_delay_alu instid0(VALU_DEP_1) | instskip(NEXT) | instid1(VALU_DEP_1)
	v_fma_f32 v72, -v33, v71, v70
	v_fmac_f32_e32 v71, v72, v34
	s_delay_alu instid0(VALU_DEP_1) | instskip(NEXT) | instid1(VALU_DEP_1)
	v_fma_f32 v33, -v33, v71, v70
	v_div_fmas_f32 v33, v33, v34, v71
	s_delay_alu instid0(VALU_DEP_1)
	v_div_fixup_f32 v32, v33, v32, 1.0
.LBB12_63:
	s_or_b32 exec_lo, exec_lo, s2
	v_mov_b32_e32 v33, 0
	s_mov_b32 s2, exec_lo
	v_cmpx_o_f32_e32 v35, v35
	s_cbranch_execz .LBB12_65
; %bb.64:
	v_mul_f32_e32 v33, 0xbfb8aa3b, v35
	v_cmp_nlt_f32_e32 vcc_lo, 0x42ce8ed0, v35
	s_delay_alu instid0(VALU_DEP_2) | instskip(SKIP_1) | instid1(VALU_DEP_1)
	v_rndne_f32_e32 v34, v33
	v_fma_f32 v70, 0xbfb8aa3b, v35, -v33
	v_dual_sub_f32 v33, v33, v34 :: v_dual_fmamk_f32 v70, v35, 0xb2a5705f, v70
	v_cvt_i32_f32_e32 v34, v34
	s_delay_alu instid0(VALU_DEP_2) | instskip(NEXT) | instid1(VALU_DEP_1)
	v_add_f32_e32 v33, v33, v70
	v_exp_f32_e32 v33, v33
	s_waitcnt_depctr 0xfff
	v_ldexp_f32 v33, v33, v34
	s_delay_alu instid0(VALU_DEP_1) | instskip(SKIP_1) | instid1(VALU_DEP_2)
	v_cndmask_b32_e32 v33, 0, v33, vcc_lo
	v_cmp_ngt_f32_e32 vcc_lo, 0xc2b17218, v35
	v_cndmask_b32_e32 v33, 0x7f800000, v33, vcc_lo
	s_delay_alu instid0(VALU_DEP_1) | instskip(NEXT) | instid1(VALU_DEP_1)
	v_add_f32_e32 v33, 1.0, v33
	v_div_scale_f32 v34, null, v33, v33, 1.0
	s_delay_alu instid0(VALU_DEP_1) | instskip(SKIP_2) | instid1(VALU_DEP_1)
	v_rcp_f32_e32 v35, v34
	s_waitcnt_depctr 0xfff
	v_fma_f32 v70, -v34, v35, 1.0
	v_fmac_f32_e32 v35, v70, v35
	v_div_scale_f32 v70, vcc_lo, 1.0, v33, 1.0
	s_delay_alu instid0(VALU_DEP_1) | instskip(NEXT) | instid1(VALU_DEP_1)
	v_mul_f32_e32 v71, v70, v35
	v_fma_f32 v72, -v34, v71, v70
	s_delay_alu instid0(VALU_DEP_1) | instskip(NEXT) | instid1(VALU_DEP_1)
	v_fmac_f32_e32 v71, v72, v35
	v_fma_f32 v34, -v34, v71, v70
	s_delay_alu instid0(VALU_DEP_1) | instskip(NEXT) | instid1(VALU_DEP_1)
	v_div_fmas_f32 v34, v34, v35, v71
	v_div_fixup_f32 v33, v34, v33, 1.0
.LBB12_65:
	s_or_b32 exec_lo, exec_lo, s2
	s_waitcnt vmcnt(0)
	v_dual_add_f32 v28, v28, v67 :: v_dual_add_f32 v29, v29, v68
	s_mov_b32 s2, exec_lo
	s_delay_alu instid0(VALU_DEP_1) | instskip(NEXT) | instid1(VALU_DEP_1)
	v_dual_max_f32 v35, 0xff7fffff, v28 :: v_dual_mov_b32 v70, v29
	v_mov_b32_e32 v34, v35
	v_cmpx_ngt_f32_e32 v29, v35
	s_cbranch_execz .LBB12_69
; %bb.66:
	v_mov_b32_e32 v34, 0xff7fffff
	s_mov_b32 s3, exec_lo
	v_cmpx_lt_f32_e32 0xff7fffff, v29
; %bb.67:
	v_mov_b32_e32 v34, v29
; %bb.68:
	s_or_b32 exec_lo, exec_lo, s3
	v_mov_b32_e32 v70, v35
.LBB12_69:
	s_or_b32 exec_lo, exec_lo, s2
	v_add_f32_e32 v30, v30, v60
	s_delay_alu instid0(VALU_DEP_2) | instskip(SKIP_1) | instid1(VALU_DEP_2)
	v_mov_b32_e32 v35, v70
	s_mov_b32 s2, exec_lo
	v_mov_b32_e32 v71, v30
	v_cmpx_ngt_f32_e32 v30, v70
	s_cbranch_execz .LBB12_73
; %bb.70:
	s_mov_b32 s3, exec_lo
	v_cmpx_gt_f32_e32 v30, v34
; %bb.71:
	v_mov_b32_e32 v34, v30
; %bb.72:
	s_or_b32 exec_lo, exec_lo, s3
	s_delay_alu instid0(VALU_DEP_1)
	v_mov_b32_e32 v35, v34
	v_mov_b32_e32 v71, v70
.LBB12_73:
	s_or_b32 exec_lo, exec_lo, s2
	v_add_f32_e32 v31, v31, v62
	s_delay_alu instid0(VALU_DEP_2) | instskip(SKIP_1) | instid1(VALU_DEP_2)
	v_mov_b32_e32 v34, v71
	s_mov_b32 s2, exec_lo
	v_mov_b32_e32 v70, v31
	v_cmpx_ngt_f32_e32 v31, v71
	s_cbranch_execz .LBB12_77
; %bb.74:
	s_mov_b32 s3, exec_lo
	v_cmpx_gt_f32_e32 v31, v35
; %bb.75:
	v_mov_b32_e32 v35, v31
; %bb.76:
	s_or_b32 exec_lo, exec_lo, s3
	s_delay_alu instid0(VALU_DEP_1)
	v_mov_b32_e32 v34, v35
	v_mov_b32_e32 v70, v71
.LBB12_77:
	s_or_b32 exec_lo, exec_lo, s2
	s_delay_alu instid0(VALU_DEP_1) | instskip(SKIP_1) | instid1(VALU_DEP_1)
	v_dual_add_f32 v24, v24, v61 :: v_dual_mov_b32 v35, v70
	s_mov_b32 s2, exec_lo
	v_mov_b32_e32 v71, v24
	v_cmpx_ngt_f32_e32 v24, v70
	s_cbranch_execz .LBB12_81
; %bb.78:
	s_mov_b32 s3, exec_lo
	v_cmpx_gt_f32_e32 v24, v34
; %bb.79:
	v_mov_b32_e32 v34, v24
; %bb.80:
	s_or_b32 exec_lo, exec_lo, s3
	s_delay_alu instid0(VALU_DEP_1)
	v_mov_b32_e32 v35, v34
	v_mov_b32_e32 v71, v70
.LBB12_81:
	s_or_b32 exec_lo, exec_lo, s2
	s_delay_alu instid0(VALU_DEP_1) | instskip(SKIP_1) | instid1(VALU_DEP_1)
	v_dual_add_f32 v25, v25, v63 :: v_dual_mov_b32 v34, v71
	s_mov_b32 s2, exec_lo
	v_mov_b32_e32 v70, v25
	v_cmpx_ngt_f32_e32 v25, v71
	s_cbranch_execz .LBB12_85
; %bb.82:
	s_mov_b32 s3, exec_lo
	v_cmpx_gt_f32_e32 v25, v35
; %bb.83:
	v_mov_b32_e32 v35, v25
; %bb.84:
	s_or_b32 exec_lo, exec_lo, s3
	s_delay_alu instid0(VALU_DEP_1)
	v_mov_b32_e32 v34, v35
	v_mov_b32_e32 v70, v71
.LBB12_85:
	s_or_b32 exec_lo, exec_lo, s2
	v_add_f32_e32 v26, v26, v56
	s_delay_alu instid0(VALU_DEP_2) | instskip(SKIP_1) | instid1(VALU_DEP_2)
	v_mov_b32_e32 v35, v70
	s_mov_b32 s2, exec_lo
	v_mov_b32_e32 v71, v26
	v_cmpx_ngt_f32_e32 v26, v70
	s_cbranch_execz .LBB12_89
; %bb.86:
	s_mov_b32 s3, exec_lo
	v_cmpx_gt_f32_e32 v26, v34
; %bb.87:
	v_mov_b32_e32 v34, v26
; %bb.88:
	s_or_b32 exec_lo, exec_lo, s3
	s_delay_alu instid0(VALU_DEP_1)
	v_mov_b32_e32 v35, v34
	v_mov_b32_e32 v71, v70
.LBB12_89:
	s_or_b32 exec_lo, exec_lo, s2
	v_add_f32_e32 v27, v27, v58
	s_delay_alu instid0(VALU_DEP_2) | instskip(SKIP_1) | instid1(VALU_DEP_2)
	v_mov_b32_e32 v34, v71
	s_mov_b32 s2, exec_lo
	v_mov_b32_e32 v70, v27
	v_cmpx_ngt_f32_e32 v27, v71
	s_cbranch_execz .LBB12_93
; %bb.90:
	s_mov_b32 s3, exec_lo
	v_cmpx_gt_f32_e32 v27, v35
; %bb.91:
	v_mov_b32_e32 v35, v27
; %bb.92:
	s_or_b32 exec_lo, exec_lo, s3
	s_delay_alu instid0(VALU_DEP_1)
	v_mov_b32_e32 v34, v35
	v_mov_b32_e32 v70, v71
.LBB12_93:
	s_or_b32 exec_lo, exec_lo, s2
	s_delay_alu instid0(VALU_DEP_1) | instskip(SKIP_1) | instid1(VALU_DEP_1)
	v_dual_add_f32 v20, v20, v57 :: v_dual_mov_b32 v35, v70
	s_mov_b32 s2, exec_lo
	v_mov_b32_e32 v71, v20
	v_cmpx_ngt_f32_e32 v20, v70
	s_cbranch_execz .LBB12_97
; %bb.94:
	s_mov_b32 s3, exec_lo
	v_cmpx_gt_f32_e32 v20, v34
; %bb.95:
	v_mov_b32_e32 v34, v20
; %bb.96:
	s_or_b32 exec_lo, exec_lo, s3
	s_delay_alu instid0(VALU_DEP_1)
	v_mov_b32_e32 v35, v34
	v_mov_b32_e32 v71, v70
.LBB12_97:
	s_or_b32 exec_lo, exec_lo, s2
	s_delay_alu instid0(VALU_DEP_1) | instskip(SKIP_1) | instid1(VALU_DEP_1)
	v_dual_add_f32 v21, v21, v59 :: v_dual_mov_b32 v34, v71
	s_mov_b32 s2, exec_lo
	v_mov_b32_e32 v70, v21
	v_cmpx_ngt_f32_e32 v21, v71
	s_cbranch_execz .LBB12_101
; %bb.98:
	s_mov_b32 s3, exec_lo
	v_cmpx_gt_f32_e32 v21, v35
; %bb.99:
	v_mov_b32_e32 v35, v21
; %bb.100:
	s_or_b32 exec_lo, exec_lo, s3
	s_delay_alu instid0(VALU_DEP_1)
	v_mov_b32_e32 v34, v35
	v_mov_b32_e32 v70, v71
.LBB12_101:
	s_or_b32 exec_lo, exec_lo, s2
	v_add_f32_e32 v22, v22, v52
	s_delay_alu instid0(VALU_DEP_2) | instskip(SKIP_1) | instid1(VALU_DEP_2)
	v_mov_b32_e32 v35, v70
	s_mov_b32 s2, exec_lo
	v_mov_b32_e32 v71, v22
	v_cmpx_ngt_f32_e32 v22, v70
	s_cbranch_execz .LBB12_105
; %bb.102:
	s_mov_b32 s3, exec_lo
	v_cmpx_gt_f32_e32 v22, v34
; %bb.103:
	v_mov_b32_e32 v34, v22
; %bb.104:
	s_or_b32 exec_lo, exec_lo, s3
	s_delay_alu instid0(VALU_DEP_1)
	v_mov_b32_e32 v35, v34
	v_mov_b32_e32 v71, v70
.LBB12_105:
	s_or_b32 exec_lo, exec_lo, s2
	v_add_f32_e32 v23, v23, v54
	s_delay_alu instid0(VALU_DEP_2) | instskip(SKIP_1) | instid1(VALU_DEP_2)
	v_mov_b32_e32 v34, v71
	s_mov_b32 s2, exec_lo
	v_mov_b32_e32 v70, v23
	v_cmpx_ngt_f32_e32 v23, v71
	s_cbranch_execz .LBB12_109
; %bb.106:
	s_mov_b32 s3, exec_lo
	v_cmpx_gt_f32_e32 v23, v35
; %bb.107:
	v_mov_b32_e32 v35, v23
; %bb.108:
	s_or_b32 exec_lo, exec_lo, s3
	s_delay_alu instid0(VALU_DEP_1)
	v_mov_b32_e32 v34, v35
	v_mov_b32_e32 v70, v71
.LBB12_109:
	s_or_b32 exec_lo, exec_lo, s2
	s_delay_alu instid0(VALU_DEP_1) | instskip(SKIP_1) | instid1(VALU_DEP_1)
	v_dual_add_f32 v16, v16, v53 :: v_dual_mov_b32 v35, v70
	s_mov_b32 s2, exec_lo
	v_mov_b32_e32 v71, v16
	v_cmpx_ngt_f32_e32 v16, v70
	s_cbranch_execz .LBB12_113
; %bb.110:
	s_mov_b32 s3, exec_lo
	v_cmpx_gt_f32_e32 v16, v34
; %bb.111:
	v_mov_b32_e32 v34, v16
; %bb.112:
	s_or_b32 exec_lo, exec_lo, s3
	s_delay_alu instid0(VALU_DEP_1)
	v_mov_b32_e32 v35, v34
	v_mov_b32_e32 v71, v70
.LBB12_113:
	s_or_b32 exec_lo, exec_lo, s2
	s_delay_alu instid0(VALU_DEP_1) | instskip(SKIP_1) | instid1(VALU_DEP_1)
	v_dual_add_f32 v17, v17, v55 :: v_dual_mov_b32 v34, v71
	s_mov_b32 s2, exec_lo
	v_mov_b32_e32 v70, v17
	v_cmpx_ngt_f32_e32 v17, v71
	s_cbranch_execz .LBB12_117
; %bb.114:
	s_mov_b32 s3, exec_lo
	v_cmpx_gt_f32_e32 v17, v35
; %bb.115:
	v_mov_b32_e32 v35, v17
; %bb.116:
	s_or_b32 exec_lo, exec_lo, s3
	s_delay_alu instid0(VALU_DEP_1)
	v_mov_b32_e32 v34, v35
	v_mov_b32_e32 v70, v71
.LBB12_117:
	s_or_b32 exec_lo, exec_lo, s2
	v_add_f32_e32 v18, v18, v48
	s_delay_alu instid0(VALU_DEP_2) | instskip(SKIP_1) | instid1(VALU_DEP_2)
	v_mov_b32_e32 v35, v70
	s_mov_b32 s2, exec_lo
	v_mov_b32_e32 v71, v18
	v_cmpx_ngt_f32_e32 v18, v70
	s_cbranch_execz .LBB12_121
; %bb.118:
	s_mov_b32 s3, exec_lo
	v_cmpx_gt_f32_e32 v18, v34
; %bb.119:
	v_mov_b32_e32 v34, v18
; %bb.120:
	s_or_b32 exec_lo, exec_lo, s3
	s_delay_alu instid0(VALU_DEP_1)
	v_mov_b32_e32 v35, v34
	v_mov_b32_e32 v71, v70
.LBB12_121:
	s_or_b32 exec_lo, exec_lo, s2
	v_add_f32_e32 v19, v19, v50
	s_delay_alu instid0(VALU_DEP_2) | instskip(SKIP_1) | instid1(VALU_DEP_2)
	v_mov_b32_e32 v34, v71
	s_mov_b32 s2, exec_lo
	v_mov_b32_e32 v70, v19
	v_cmpx_ngt_f32_e32 v19, v71
	s_cbranch_execz .LBB12_125
; %bb.122:
	s_mov_b32 s3, exec_lo
	v_cmpx_gt_f32_e32 v19, v35
; %bb.123:
	v_mov_b32_e32 v35, v19
; %bb.124:
	s_or_b32 exec_lo, exec_lo, s3
	s_delay_alu instid0(VALU_DEP_1)
	v_mov_b32_e32 v34, v35
	v_mov_b32_e32 v70, v71
.LBB12_125:
	s_or_b32 exec_lo, exec_lo, s2
	s_delay_alu instid0(VALU_DEP_1) | instskip(SKIP_1) | instid1(VALU_DEP_1)
	v_dual_add_f32 v12, v12, v49 :: v_dual_mov_b32 v35, v70
	s_mov_b32 s2, exec_lo
	v_mov_b32_e32 v71, v12
	v_cmpx_ngt_f32_e32 v12, v70
	s_cbranch_execz .LBB12_129
; %bb.126:
	s_mov_b32 s3, exec_lo
	v_cmpx_gt_f32_e32 v12, v34
; %bb.127:
	v_mov_b32_e32 v34, v12
; %bb.128:
	s_or_b32 exec_lo, exec_lo, s3
	s_delay_alu instid0(VALU_DEP_1)
	v_mov_b32_e32 v35, v34
	v_mov_b32_e32 v71, v70
.LBB12_129:
	s_or_b32 exec_lo, exec_lo, s2
	s_delay_alu instid0(VALU_DEP_1) | instskip(SKIP_1) | instid1(VALU_DEP_1)
	v_dual_add_f32 v13, v13, v51 :: v_dual_mov_b32 v34, v71
	s_mov_b32 s2, exec_lo
	v_mov_b32_e32 v70, v13
	v_cmpx_ngt_f32_e32 v13, v71
	s_cbranch_execz .LBB12_133
; %bb.130:
	s_mov_b32 s3, exec_lo
	v_cmpx_gt_f32_e32 v13, v35
; %bb.131:
	v_mov_b32_e32 v35, v13
; %bb.132:
	s_or_b32 exec_lo, exec_lo, s3
	s_delay_alu instid0(VALU_DEP_1)
	v_mov_b32_e32 v34, v35
	v_mov_b32_e32 v70, v71
.LBB12_133:
	s_or_b32 exec_lo, exec_lo, s2
	v_add_f32_e32 v14, v14, v44
	s_delay_alu instid0(VALU_DEP_2) | instskip(SKIP_1) | instid1(VALU_DEP_2)
	v_mov_b32_e32 v35, v70
	s_mov_b32 s2, exec_lo
	v_mov_b32_e32 v71, v14
	v_cmpx_ngt_f32_e32 v14, v70
	s_cbranch_execz .LBB12_137
; %bb.134:
	s_mov_b32 s3, exec_lo
	v_cmpx_gt_f32_e32 v14, v34
; %bb.135:
	v_mov_b32_e32 v34, v14
; %bb.136:
	s_or_b32 exec_lo, exec_lo, s3
	s_delay_alu instid0(VALU_DEP_1)
	v_mov_b32_e32 v35, v34
	v_mov_b32_e32 v71, v70
.LBB12_137:
	s_or_b32 exec_lo, exec_lo, s2
	v_add_f32_e32 v15, v15, v46
	s_delay_alu instid0(VALU_DEP_2) | instskip(SKIP_1) | instid1(VALU_DEP_2)
	v_mov_b32_e32 v34, v71
	s_mov_b32 s2, exec_lo
	v_mov_b32_e32 v70, v15
	v_cmpx_ngt_f32_e32 v15, v71
	s_cbranch_execz .LBB12_141
; %bb.138:
	s_mov_b32 s3, exec_lo
	v_cmpx_gt_f32_e32 v15, v35
; %bb.139:
	v_mov_b32_e32 v35, v15
; %bb.140:
	s_or_b32 exec_lo, exec_lo, s3
	s_delay_alu instid0(VALU_DEP_1)
	v_mov_b32_e32 v34, v35
	v_mov_b32_e32 v70, v71
.LBB12_141:
	s_or_b32 exec_lo, exec_lo, s2
	s_delay_alu instid0(VALU_DEP_1) | instskip(SKIP_1) | instid1(VALU_DEP_1)
	v_dual_add_f32 v8, v8, v45 :: v_dual_mov_b32 v35, v70
	s_mov_b32 s2, exec_lo
	v_mov_b32_e32 v71, v8
	v_cmpx_ngt_f32_e32 v8, v70
	s_cbranch_execz .LBB12_145
; %bb.142:
	s_mov_b32 s3, exec_lo
	v_cmpx_gt_f32_e32 v8, v34
; %bb.143:
	v_mov_b32_e32 v34, v8
; %bb.144:
	s_or_b32 exec_lo, exec_lo, s3
	s_delay_alu instid0(VALU_DEP_1)
	v_mov_b32_e32 v35, v34
	v_mov_b32_e32 v71, v70
.LBB12_145:
	s_or_b32 exec_lo, exec_lo, s2
	s_delay_alu instid0(VALU_DEP_1) | instskip(SKIP_1) | instid1(VALU_DEP_1)
	v_dual_add_f32 v9, v9, v47 :: v_dual_mov_b32 v70, v71
	s_mov_b32 s2, exec_lo
	v_mov_b32_e32 v72, v9
	v_cmpx_ngt_f32_e32 v9, v71
	s_cbranch_execz .LBB12_149
; %bb.146:
	s_mov_b32 s3, exec_lo
	v_cmpx_gt_f32_e32 v9, v35
; %bb.147:
	v_mov_b32_e32 v35, v9
; %bb.148:
	s_or_b32 exec_lo, exec_lo, s3
	s_delay_alu instid0(VALU_DEP_1)
	v_mov_b32_e32 v70, v35
	v_mov_b32_e32 v72, v71
.LBB12_149:
	s_or_b32 exec_lo, exec_lo, s2
	v_add_f32_e32 v34, v10, v40
	s_delay_alu instid0(VALU_DEP_2) | instskip(SKIP_1) | instid1(VALU_DEP_2)
	v_mov_b32_e32 v10, v72
	s_mov_b32 s2, exec_lo
	v_mov_b32_e32 v35, v34
	v_cmpx_ngt_f32_e32 v34, v72
	s_cbranch_execz .LBB12_153
; %bb.150:
	s_mov_b32 s3, exec_lo
	v_cmpx_gt_f32_e32 v34, v70
; %bb.151:
	v_mov_b32_e32 v70, v34
; %bb.152:
	s_or_b32 exec_lo, exec_lo, s3
	s_delay_alu instid0(VALU_DEP_1)
	v_dual_mov_b32 v10, v70 :: v_dual_mov_b32 v35, v72
.LBB12_153:
	s_or_b32 exec_lo, exec_lo, s2
	v_add_f32_e32 v11, v11, v42
	s_delay_alu instid0(VALU_DEP_2) | instskip(SKIP_1) | instid1(VALU_DEP_2)
	v_mov_b32_e32 v70, v35
	s_mov_b32 s2, exec_lo
	v_mov_b32_e32 v71, v11
	v_cmpx_ngt_f32_e32 v11, v35
	s_cbranch_execz .LBB12_157
; %bb.154:
	s_mov_b32 s3, exec_lo
	v_cmpx_gt_f32_e32 v11, v10
; %bb.155:
	v_mov_b32_e32 v10, v11
; %bb.156:
	s_or_b32 exec_lo, exec_lo, s3
	s_delay_alu instid0(VALU_DEP_1)
	v_dual_mov_b32 v70, v10 :: v_dual_mov_b32 v71, v35
.LBB12_157:
	s_or_b32 exec_lo, exec_lo, s2
	s_delay_alu instid0(VALU_DEP_1) | instskip(SKIP_1) | instid1(VALU_DEP_1)
	v_dual_add_f32 v35, v4, v41 :: v_dual_mov_b32 v4, v71
	s_mov_b32 s2, exec_lo
	v_mov_b32_e32 v10, v35
	v_cmpx_ngt_f32_e32 v35, v71
	s_cbranch_execz .LBB12_161
; %bb.158:
	s_mov_b32 s3, exec_lo
	v_cmpx_gt_f32_e32 v35, v70
; %bb.159:
	v_mov_b32_e32 v70, v35
; %bb.160:
	s_or_b32 exec_lo, exec_lo, s3
	s_delay_alu instid0(VALU_DEP_1)
	v_mov_b32_e32 v4, v70
	v_mov_b32_e32 v10, v71
.LBB12_161:
	s_or_b32 exec_lo, exec_lo, s2
	s_delay_alu instid0(VALU_DEP_1) | instskip(SKIP_1) | instid1(VALU_DEP_1)
	v_dual_add_f32 v70, v5, v43 :: v_dual_mov_b32 v5, v10
	s_mov_b32 s2, exec_lo
	v_mov_b32_e32 v71, v70
	v_cmpx_ngt_f32_e32 v70, v10
	s_cbranch_execz .LBB12_165
; %bb.162:
	s_mov_b32 s3, exec_lo
	v_cmpx_gt_f32_e32 v70, v4
; %bb.163:
	v_mov_b32_e32 v4, v70
; %bb.164:
	s_or_b32 exec_lo, exec_lo, s3
	s_delay_alu instid0(VALU_DEP_1)
	v_mov_b32_e32 v5, v4
	v_mov_b32_e32 v71, v10
.LBB12_165:
	s_or_b32 exec_lo, exec_lo, s2
	v_add_f32_e32 v6, v6, v36
	s_delay_alu instid0(VALU_DEP_2) | instskip(SKIP_1) | instid1(VALU_DEP_2)
	v_mov_b32_e32 v4, v71
	s_mov_b32 s2, exec_lo
	v_mov_b32_e32 v10, v6
	v_cmpx_ngt_f32_e32 v6, v71
	s_cbranch_execz .LBB12_169
; %bb.166:
	s_mov_b32 s3, exec_lo
	v_cmpx_gt_f32_e32 v6, v5
; %bb.167:
	v_mov_b32_e32 v5, v6
; %bb.168:
	s_or_b32 exec_lo, exec_lo, s3
	s_delay_alu instid0(VALU_DEP_1)
	v_mov_b32_e32 v4, v5
	v_mov_b32_e32 v10, v71
.LBB12_169:
	s_or_b32 exec_lo, exec_lo, s2
	v_add_f32_e32 v7, v7, v38
	s_delay_alu instid0(VALU_DEP_2) | instskip(SKIP_1) | instid1(VALU_DEP_2)
	v_mov_b32_e32 v5, v10
	s_mov_b32 s2, exec_lo
	v_mov_b32_e32 v72, v7
	v_cmpx_ngt_f32_e32 v7, v10
	s_cbranch_execz .LBB12_173
; %bb.170:
	s_mov_b32 s3, exec_lo
	v_cmpx_gt_f32_e32 v7, v4
; %bb.171:
	v_mov_b32_e32 v4, v7
; %bb.172:
	s_or_b32 exec_lo, exec_lo, s3
	s_delay_alu instid0(VALU_DEP_1)
	v_dual_mov_b32 v5, v4 :: v_dual_mov_b32 v72, v10
.LBB12_173:
	s_or_b32 exec_lo, exec_lo, s2
	v_add_f32_e32 v71, v0, v37
	s_delay_alu instid0(VALU_DEP_2) | instskip(SKIP_1) | instid1(VALU_DEP_2)
	v_mov_b32_e32 v0, v72
	s_mov_b32 s2, exec_lo
	v_mov_b32_e32 v4, v71
	v_cmpx_ngt_f32_e32 v71, v72
	s_cbranch_execz .LBB12_177
; %bb.174:
	s_mov_b32 s3, exec_lo
	v_cmpx_gt_f32_e32 v71, v5
; %bb.175:
	v_mov_b32_e32 v5, v71
; %bb.176:
	s_or_b32 exec_lo, exec_lo, s3
	s_delay_alu instid0(VALU_DEP_1)
	v_mov_b32_e32 v0, v5
	v_mov_b32_e32 v4, v72
.LBB12_177:
	s_or_b32 exec_lo, exec_lo, s2
	s_delay_alu instid0(VALU_DEP_1) | instskip(SKIP_1) | instid1(VALU_DEP_1)
	v_dual_add_f32 v72, v1, v39 :: v_dual_mov_b32 v1, v4
	s_mov_b32 s2, exec_lo
	v_mov_b32_e32 v5, v72
	v_cmpx_ngt_f32_e32 v72, v4
	s_cbranch_execz .LBB12_181
; %bb.178:
	s_mov_b32 s3, exec_lo
	v_cmpx_gt_f32_e32 v72, v0
; %bb.179:
	v_mov_b32_e32 v0, v72
; %bb.180:
	s_or_b32 exec_lo, exec_lo, s3
	s_delay_alu instid0(VALU_DEP_1)
	v_mov_b32_e32 v1, v0
	v_mov_b32_e32 v5, v4
.LBB12_181:
	s_or_b32 exec_lo, exec_lo, s2
	s_delay_alu instid0(VALU_DEP_1) | instskip(SKIP_1) | instid1(VALU_DEP_1)
	v_dual_add_f32 v73, v2, v32 :: v_dual_mov_b32 v0, v5
	;; [unrolled: 18-line block ×3, first 2 shown]
	s_mov_b32 s2, exec_lo
	v_mov_b32_e32 v3, v74
	v_cmpx_ngt_f32_e32 v74, v2
	s_cbranch_execz .LBB12_189
; %bb.186:
	s_mov_b32 s3, exec_lo
	v_cmpx_gt_f32_e32 v74, v0
; %bb.187:
	v_mov_b32_e32 v0, v74
; %bb.188:
	s_or_b32 exec_lo, exec_lo, s3
	s_delay_alu instid0(VALU_DEP_1)
	v_mov_b32_e32 v1, v0
	v_mov_b32_e32 v3, v2
.LBB12_189:
	s_or_b32 exec_lo, exec_lo, s2
	v_cmp_lt_i64_e64 s2, s[46:47], 4
	v_lshlrev_b32_e32 v75, 5, v66
	s_delay_alu instid0(VALU_DEP_2)
	s_and_b32 vcc_lo, exec_lo, s2
	s_cbranch_vccz .LBB12_192
; %bb.190:
	v_add_f32_e32 v0, v1, v3
	s_sub_u32 s4, 4, s46
	s_subb_u32 s5, 0, s47
	s_mov_b64 s[6:7], 0
	s_set_inst_prefetch_distance 0x1
	.p2align	6
.LBB12_191:                             ; =>This Inner Loop Header: Depth=1
	s_delay_alu instid0(VALU_DEP_1) | instskip(SKIP_1) | instid1(VALU_DEP_2)
	v_mov_b32_dpp v1, v0 quad_perm:[1,0,3,2] row_mask:0xf bank_mask:0xf
	v_mov_b32_dpp v2, v75 quad_perm:[1,0,3,2] row_mask:0xf bank_mask:0xf
	v_cmp_eq_f32_e32 vcc_lo, v0, v1
	s_delay_alu instid0(VALU_DEP_2) | instskip(SKIP_1) | instid1(VALU_DEP_2)
	v_cmp_lt_i32_e64 s2, v75, v2
	v_cmp_lt_f32_e64 s3, v0, v1
	s_and_b32 s2, s2, vcc_lo
	s_delay_alu instid0(VALU_DEP_1) | instid1(SALU_CYCLE_1)
	s_or_b32 vcc_lo, s3, s2
	s_add_u32 s6, s6, 1
	v_dual_cndmask_b32 v1, v1, v0 :: v_dual_cndmask_b32 v2, v2, v75
	s_addc_u32 s7, s7, 0
	s_delay_alu instid0(SALU_CYCLE_1) | instskip(NEXT) | instid1(VALU_DEP_2)
	v_cmp_le_i64_e64 s2, s[4:5], s[6:7]
	v_mov_b32_dpp v4, v1 quad_perm:[2,3,0,1] row_mask:0xf bank_mask:0xf
	s_delay_alu instid0(VALU_DEP_3) | instskip(NEXT) | instid1(VALU_DEP_2)
	v_mov_b32_dpp v3, v2 quad_perm:[2,3,0,1] row_mask:0xf bank_mask:0xf
	v_cmp_eq_f32_e32 vcc_lo, v1, v4
	s_delay_alu instid0(VALU_DEP_2) | instskip(NEXT) | instid1(VALU_DEP_1)
	v_min_i32_e32 v5, v2, v3
	v_cndmask_b32_e32 v3, v3, v5, vcc_lo
	v_cmp_lt_f32_e32 vcc_lo, v1, v4
	s_delay_alu instid0(VALU_DEP_2) | instskip(NEXT) | instid1(VALU_DEP_1)
	v_cndmask_b32_e32 v1, v3, v2, vcc_lo
	v_ashrrev_i32_e32 v2, 31, v1
	s_delay_alu instid0(VALU_DEP_1) | instskip(NEXT) | instid1(VALU_DEP_1)
	v_lshrrev_b32_e32 v2, 27, v2
	v_add_nc_u32_e32 v1, v1, v2
	s_delay_alu instid0(VALU_DEP_1) | instskip(NEXT) | instid1(VALU_DEP_1)
	v_ashrrev_i32_e32 v1, 5, v1
	v_cmp_eq_u32_e32 vcc_lo, v66, v1
	v_cndmask_b32_e64 v28, v28, 0x7f7fffff, vcc_lo
	v_cndmask_b32_e64 v0, v0, 0x7f7fffff, vcc_lo
	s_and_b32 vcc_lo, exec_lo, s2
	s_cbranch_vccz .LBB12_191
.LBB12_192:
	s_set_inst_prefetch_distance 0x2
	s_sub_u32 s36, s48, s50
	s_subb_u32 s37, s49, s51
	s_mov_b64 s[2:3], src_shared_base
	s_cmp_lg_u32 0, -1
	v_and_b32_e32 v4, 0x3fc, v69
	s_cselect_b32 s2, s3, 0
	s_cselect_b32 s3, 0, 0
	s_load_b32 s35, s[0:1], 0x48
	s_add_u32 s4, s3, 0xff
	s_addc_u32 s3, s2, 0
	s_and_b32 s2, s4, 0xffffff00
	s_delay_alu instid0(SALU_CYCLE_1) | instskip(SKIP_1) | instid1(VALU_DEP_1)
	v_mad_u64_u32 v[0:1], null, v4, s48, s[2:3]
	v_cmp_lt_i64_e64 s2, s[36:37], 1
	s_and_b32 vcc_lo, exec_lo, s2
	s_delay_alu instid0(VALU_DEP_2) | instskip(SKIP_1) | instid1(VALU_DEP_2)
	v_mad_u64_u32 v[2:3], null, v4, s49, v[1:2]
	v_cmp_eq_u32_e64 s2, 0, v66
	v_mov_b32_e32 v1, v2
	s_cbranch_vccnz .LBB12_203
; %bb.193:
	s_waitcnt lgkmcnt(0)
	v_mad_u64_u32 v[2:3], null, s35, v64, 0
	s_ashr_i32 s3, s35, 31
	v_mul_u32_u24_e32 v69, 32, v66
	s_mov_b64 s[38:39], 0
	v_mov_b32_e32 v10, 0
	s_delay_alu instid0(VALU_DEP_3) | instskip(NEXT) | instid1(VALU_DEP_1)
	v_mad_u64_u32 v[4:5], null, s3, v64, v[3:4]
	v_mov_b32_e32 v3, v4
	v_dual_mov_b32 v5, v1 :: v_dual_mov_b32 v4, v0
	s_delay_alu instid0(VALU_DEP_2) | instskip(NEXT) | instid1(VALU_DEP_1)
	v_lshlrev_b64 v[2:3], 2, v[2:3]
	v_add_co_u32 v2, vcc_lo, s42, v2
	s_delay_alu instid0(VALU_DEP_2)
	v_add_co_ci_u32_e32 v3, vcc_lo, s43, v3, vcc_lo
	s_branch .LBB12_195
.LBB12_194:                             ;   in Loop: Header=BB12_195 Depth=1
	s_or_b32 exec_lo, exec_lo, s3
	s_add_u32 s38, s38, 1
	s_addc_u32 s39, s39, 0
	v_add_co_u32 v2, vcc_lo, v2, 4
	v_cmp_le_i64_e64 s3, s[36:37], s[38:39]
	v_add_co_ci_u32_e32 v3, vcc_lo, 0, v3, vcc_lo
	v_add_co_u32 v4, vcc_lo, v4, 4
	v_add_co_ci_u32_e32 v5, vcc_lo, 0, v5, vcc_lo
	s_delay_alu instid0(VALU_DEP_4)
	s_and_b32 vcc_lo, exec_lo, s3
	s_cbranch_vccnz .LBB12_204
.LBB12_195:                             ; =>This Inner Loop Header: Depth=1
	v_dual_mov_b32 v76, 0xff7fffff :: v_dual_mov_b32 v77, v75
	s_mov_b32 s3, exec_lo
	v_cmpx_neq_f32_e32 0x7f7fffff, v28
	s_cbranch_execz .LBB12_197
; %bb.196:                              ;   in Loop: Header=BB12_195 Depth=1
	v_cmp_gt_f32_e32 vcc_lo, v29, v28
	v_cndmask_b32_e32 v76, v28, v29, vcc_lo
	v_cndmask_b32_e64 v77, 0, 1, vcc_lo
	s_delay_alu instid0(VALU_DEP_2) | instskip(SKIP_1) | instid1(VALU_DEP_3)
	v_cmp_gt_f32_e32 vcc_lo, v30, v76
	v_cndmask_b32_e32 v76, v76, v30, vcc_lo
	v_cndmask_b32_e64 v77, v77, 2, vcc_lo
	s_delay_alu instid0(VALU_DEP_2) | instskip(SKIP_1) | instid1(VALU_DEP_3)
	;; [unrolled: 4-line block ×29, first 2 shown]
	v_cmp_gt_f32_e32 vcc_lo, v73, v76
	v_cndmask_b32_e32 v76, v76, v73, vcc_lo
	v_cndmask_b32_e64 v77, v77, 30, vcc_lo
	s_delay_alu instid0(VALU_DEP_2) | instskip(NEXT) | instid1(VALU_DEP_2)
	v_cmp_gt_f32_e32 vcc_lo, v74, v76
	v_cndmask_b32_e64 v77, v77, 31, vcc_lo
	v_cndmask_b32_e32 v76, v76, v74, vcc_lo
	s_delay_alu instid0(VALU_DEP_2)
	v_or_b32_e32 v77, v77, v75
.LBB12_197:                             ;   in Loop: Header=BB12_195 Depth=1
	s_or_b32 exec_lo, exec_lo, s3
	s_delay_alu instid0(VALU_DEP_2) | instskip(NEXT) | instid1(VALU_DEP_2)
	v_mov_b32_dpp v78, v76 quad_perm:[1,0,3,2] row_mask:0xf bank_mask:0xf
	v_mov_b32_dpp v79, v77 quad_perm:[1,0,3,2] row_mask:0xf bank_mask:0xf
	s_mov_b32 s44, exec_lo
	s_delay_alu instid0(VALU_DEP_2) | instskip(NEXT) | instid1(VALU_DEP_2)
	v_cmp_eq_f32_e32 vcc_lo, v76, v78
	v_cmp_lt_i32_e64 s3, v77, v79
	v_cmp_gt_f32_e64 s4, v76, v78
	s_delay_alu instid0(VALU_DEP_2)
	s_and_b32 s3, vcc_lo, s3
	s_delay_alu instid0(VALU_DEP_1) | instid1(SALU_CYCLE_1)
	s_or_b32 vcc_lo, s4, s3
	v_dual_cndmask_b32 v76, v78, v76 :: v_dual_cndmask_b32 v77, v79, v77
	s_delay_alu instid0(VALU_DEP_1) | instskip(NEXT) | instid1(VALU_DEP_2)
	v_mov_b32_dpp v79, v76 quad_perm:[2,3,0,1] row_mask:0xf bank_mask:0xf
	v_mov_b32_dpp v78, v77 quad_perm:[2,3,0,1] row_mask:0xf bank_mask:0xf
	s_delay_alu instid0(VALU_DEP_2) | instskip(NEXT) | instid1(VALU_DEP_2)
	v_cmp_eq_f32_e32 vcc_lo, v76, v79
	v_min_i32_e32 v80, v77, v78
	s_delay_alu instid0(VALU_DEP_1) | instskip(SKIP_1) | instid1(VALU_DEP_2)
	v_cndmask_b32_e32 v78, v78, v80, vcc_lo
	v_cmp_gt_f32_e32 vcc_lo, v76, v79
	v_cndmask_b32_e32 v76, v78, v77, vcc_lo
	s_delay_alu instid0(VALU_DEP_1) | instskip(NEXT) | instid1(VALU_DEP_1)
	v_ashrrev_i32_e32 v77, 31, v76
	v_lshrrev_b32_e32 v77, 27, v77
	s_delay_alu instid0(VALU_DEP_1) | instskip(NEXT) | instid1(VALU_DEP_1)
	v_add_nc_u32_e32 v77, v76, v77
	v_ashrrev_i32_e32 v77, 5, v77
	s_delay_alu instid0(VALU_DEP_1)
	v_cmpx_eq_u32_e64 v66, v77
	s_cbranch_execz .LBB12_201
; %bb.198:                              ;   in Loop: Header=BB12_195 Depth=1
	v_sub_nc_u32_e32 v77, v76, v69
	s_mov_b32 s45, exec_lo
	s_delay_alu instid0(VALU_DEP_1)
	v_cmp_eq_u32_e32 vcc_lo, 1, v77
	v_cmp_eq_u32_e64 s3, 2, v77
	v_cmp_eq_u32_e64 s4, 3, v77
	;; [unrolled: 1-line block ×30, first 2 shown]
	v_cmpx_gt_u32_e32 32, v77
	s_cbranch_execz .LBB12_200
; %bb.199:                              ;   in Loop: Header=BB12_195 Depth=1
	v_cndmask_b32_e32 v78, v67, v68, vcc_lo
	s_delay_alu instid0(VALU_DEP_1) | instskip(NEXT) | instid1(VALU_DEP_1)
	v_cndmask_b32_e64 v78, v78, v60, s3
	v_cndmask_b32_e64 v78, v78, v62, s4
	s_delay_alu instid0(VALU_DEP_1) | instskip(NEXT) | instid1(VALU_DEP_1)
	v_cndmask_b32_e64 v78, v78, v61, s5
	v_cndmask_b32_e64 v78, v78, v63, s6
	;; [unrolled: 3-line block ×15, first 2 shown]
	flat_store_b32 v[4:5], v78
.LBB12_200:                             ;   in Loop: Header=BB12_195 Depth=1
	s_or_b32 exec_lo, exec_lo, s45
	v_cmp_ne_u32_e64 s34, 0, v77
	v_cndmask_b32_e64 v29, v29, 0xff7fffff, vcc_lo
	v_cndmask_b32_e64 v30, v30, 0xff7fffff, s3
	v_cndmask_b32_e64 v31, v31, 0xff7fffff, s4
	;; [unrolled: 1-line block ×31, first 2 shown]
	global_store_b32 v[2:3], v76, off
.LBB12_201:                             ;   in Loop: Header=BB12_195 Depth=1
	s_or_b32 exec_lo, exec_lo, s44
	s_waitcnt lgkmcnt(0)
	s_waitcnt_vscnt null, 0x0
	s_barrier
	buffer_gl0_inv
	s_and_saveexec_b32 s3, s2
	s_cbranch_execz .LBB12_194
; %bb.202:                              ;   in Loop: Header=BB12_195 Depth=1
	flat_load_b32 v76, v[4:5]
	s_waitcnt vmcnt(0) lgkmcnt(0)
	v_add_f32_e32 v10, v10, v76
	s_branch .LBB12_194
.LBB12_203:
	v_mov_b32_e32 v10, 0
.LBB12_204:
	v_cmp_gt_i64_e64 s3, s[50:51], 0
	v_cmp_eq_u32_e64 s2, 0, v66
	s_delay_alu instid0(VALU_DEP_1) | instskip(NEXT) | instid1(SALU_CYCLE_1)
	s_and_b32 s4, s2, s3
	s_and_saveexec_b32 s3, s4
	s_cbranch_execz .LBB12_210
; %bb.205:
	v_dual_mov_b32 v2, v64 :: v_dual_mov_b32 v3, v65
	s_mov_b32 s4, exec_lo
	v_cmpx_le_u64_e64 s[50:51], v[64:65]
	s_cbranch_execz .LBB12_207
; %bb.206:
	v_cvt_f32_u32_e32 v2, s50
	s_sub_i32 s5, 0, s50
	s_delay_alu instid0(VALU_DEP_1) | instskip(SKIP_2) | instid1(VALU_DEP_1)
	v_rcp_iflag_f32_e32 v2, v2
	s_waitcnt_depctr 0xfff
	v_mul_f32_e32 v2, 0x4f7ffffe, v2
	v_cvt_u32_f32_e32 v2, v2
	s_delay_alu instid0(VALU_DEP_1) | instskip(NEXT) | instid1(VALU_DEP_1)
	v_mul_lo_u32 v3, s5, v2
	v_mul_hi_u32 v3, v2, v3
	s_delay_alu instid0(VALU_DEP_1) | instskip(NEXT) | instid1(VALU_DEP_1)
	v_add_nc_u32_e32 v2, v2, v3
	v_mul_hi_u32 v2, v64, v2
	s_delay_alu instid0(VALU_DEP_1) | instskip(NEXT) | instid1(VALU_DEP_1)
	v_mul_lo_u32 v2, v2, s50
	v_sub_nc_u32_e32 v2, v64, v2
	s_delay_alu instid0(VALU_DEP_1) | instskip(SKIP_1) | instid1(VALU_DEP_2)
	v_subrev_nc_u32_e32 v3, s50, v2
	v_cmp_le_u32_e32 vcc_lo, s50, v2
	v_cndmask_b32_e32 v2, v2, v3, vcc_lo
	s_delay_alu instid0(VALU_DEP_1) | instskip(SKIP_1) | instid1(VALU_DEP_2)
	v_subrev_nc_u32_e32 v3, s50, v2
	v_cmp_le_u32_e32 vcc_lo, s50, v2
	v_dual_cndmask_b32 v2, v2, v3 :: v_dual_mov_b32 v3, 0
.LBB12_207:
	s_or_b32 exec_lo, exec_lo, s4
	v_cvt_f64_f32_e32 v[4:5], v10
	s_load_b64 s[0:1], s[0:1], 0x40
	s_waitcnt lgkmcnt(0)
	s_delay_alu instid0(VALU_DEP_1) | instskip(SKIP_1) | instid1(VALU_DEP_2)
	v_div_scale_f64 v[6:7], null, s[0:1], s[0:1], v[4:5]
	v_div_scale_f64 v[13:14], vcc_lo, v[4:5], s[0:1], v[4:5]
	v_rcp_f64_e32 v[8:9], v[6:7]
	s_waitcnt_depctr 0xfff
	v_fma_f64 v[11:12], -v[6:7], v[8:9], 1.0
	s_delay_alu instid0(VALU_DEP_1) | instskip(NEXT) | instid1(VALU_DEP_1)
	v_fma_f64 v[8:9], v[8:9], v[11:12], v[8:9]
	v_fma_f64 v[11:12], -v[6:7], v[8:9], 1.0
	s_delay_alu instid0(VALU_DEP_1) | instskip(NEXT) | instid1(VALU_DEP_1)
	v_fma_f64 v[8:9], v[8:9], v[11:12], v[8:9]
	v_mul_f64 v[11:12], v[13:14], v[8:9]
	s_delay_alu instid0(VALU_DEP_1) | instskip(NEXT) | instid1(VALU_DEP_1)
	v_fma_f64 v[6:7], -v[6:7], v[11:12], v[13:14]
	v_div_fmas_f64 v[6:7], v[6:7], v[8:9], v[11:12]
	v_add_nc_u32_e32 v9, 0x80, v2
	s_delay_alu instid0(VALU_DEP_2) | instskip(SKIP_2) | instid1(VALU_DEP_2)
	v_div_fixup_f64 v[4:5], v[6:7], s[0:1], v[4:5]
	v_mad_u64_u32 v[6:7], null, s35, v64, s[36:37]
	s_ashr_i32 s0, s35, 31
	v_cvt_f32_f64_e32 v8, v[4:5]
	s_delay_alu instid0(VALU_DEP_2) | instskip(NEXT) | instid1(VALU_DEP_1)
	v_mov_b32_e32 v4, v7
	v_mad_u64_u32 v[11:12], null, s0, v64, v[4:5]
	v_cmp_lt_u64_e64 s0, s[50:51], 2
	s_delay_alu instid0(VALU_DEP_2) | instskip(NEXT) | instid1(VALU_DEP_1)
	v_mov_b32_e32 v7, v11
	v_lshlrev_b64 v[4:5], 2, v[6:7]
	s_delay_alu instid0(VALU_DEP_1) | instskip(NEXT) | instid1(VALU_DEP_2)
	v_add_co_u32 v6, vcc_lo, s42, v4
	v_add_co_ci_u32_e32 v7, vcc_lo, s43, v5, vcc_lo
	v_add_co_u32 v11, vcc_lo, s40, v4
	v_add_co_ci_u32_e32 v12, vcc_lo, s41, v5, vcc_lo
	s_and_b32 vcc_lo, exec_lo, s0
	global_store_b32 v[6:7], v9, off
	global_store_b32 v[11:12], v8, off
	s_cbranch_vccnz .LBB12_210
; %bb.208:
	v_add_co_u32 v6, vcc_lo, v4, 4
	v_add_co_ci_u32_e32 v7, vcc_lo, 0, v5, vcc_lo
	s_mov_b64 s[0:1], 1
	s_delay_alu instid0(VALU_DEP_2) | instskip(NEXT) | instid1(VALU_DEP_2)
	v_add_co_u32 v4, vcc_lo, s40, v6
	v_add_co_ci_u32_e32 v5, vcc_lo, s41, v7, vcc_lo
	v_add_co_u32 v6, vcc_lo, s42, v6
	v_add_co_ci_u32_e32 v7, vcc_lo, s43, v7, vcc_lo
	.p2align	6
.LBB12_209:                             ; =>This Inner Loop Header: Depth=1
	s_delay_alu instid0(VALU_DEP_2)
	v_add_co_u32 v11, vcc_lo, v2, 1
	v_add_co_ci_u32_e32 v12, vcc_lo, 0, v3, vcc_lo
	v_add_nc_u32_e32 v2, 0x81, v2
	s_add_u32 s0, s0, 1
	global_store_b32 v[4:5], v8, off
	v_add_co_u32 v4, vcc_lo, v4, 4
	s_addc_u32 s1, s1, 0
	v_add_co_ci_u32_e32 v5, vcc_lo, 0, v5, vcc_lo
	v_cmp_lt_u64_e64 s4, s[0:1], s[50:51]
	global_store_b32 v[6:7], v2, off
	v_add_co_u32 v6, vcc_lo, v6, 4
	v_dual_mov_b32 v2, v11 :: v_dual_mov_b32 v3, v12
	v_add_co_ci_u32_e32 v7, vcc_lo, 0, v7, vcc_lo
	s_and_b32 vcc_lo, exec_lo, s4
	s_cbranch_vccnz .LBB12_209
.LBB12_210:
	s_or_b32 exec_lo, exec_lo, s3
	v_cmp_gt_i64_e64 s3, s[48:49], 0
	s_mov_b64 s[0:1], 0
	s_waitcnt lgkmcnt(0)
	s_waitcnt_vscnt null, 0x0
	s_barrier
	buffer_gl0_inv
	s_and_b32 s2, s2, s3
	s_delay_alu instid0(SALU_CYCLE_1)
	s_and_b32 exec_lo, exec_lo, s2
	s_cbranch_execz .LBB12_217
; %bb.211:
	v_mad_u64_u32 v[2:3], null, s35, v64, 0
	s_ashr_i32 s2, s35, 31
	s_delay_alu instid0(VALU_DEP_1) | instid1(SALU_CYCLE_1)
	v_mad_u64_u32 v[4:5], null, s2, v64, v[3:4]
	v_cmp_lt_u64_e64 s2, s[48:49], 8
	s_delay_alu instid0(VALU_DEP_2) | instskip(NEXT) | instid1(VALU_DEP_1)
	v_mov_b32_e32 v3, v4
	v_lshlrev_b64 v[2:3], 2, v[2:3]
	s_delay_alu instid0(VALU_DEP_1) | instskip(NEXT) | instid1(VALU_DEP_2)
	v_add_co_u32 v2, vcc_lo, s40, v2
	v_add_co_ci_u32_e32 v3, vcc_lo, s41, v3, vcc_lo
	s_and_b32 vcc_lo, exec_lo, s2
	s_cbranch_vccnz .LBB12_214
; %bb.212:
	s_and_b32 s1, s49, 0x7fffffff
	s_and_b32 s0, s48, -8
	s_mov_b64 s[2:3], 0
	s_mov_b64 s[4:5], s[0:1]
.LBB12_213:                             ; =>This Inner Loop Header: Depth=1
	v_add_co_u32 v4, vcc_lo, v0, s2
	v_add_co_ci_u32_e32 v5, vcc_lo, s3, v1, vcc_lo
	flat_load_b32 v8, v[4:5]
	s_waitcnt vmcnt(0) lgkmcnt(0)
	v_div_scale_f32 v6, null, v10, v10, v8
	v_div_scale_f32 v11, vcc_lo, v8, v10, v8
	s_delay_alu instid0(VALU_DEP_2) | instskip(SKIP_2) | instid1(VALU_DEP_1)
	v_rcp_f32_e32 v7, v6
	s_waitcnt_depctr 0xfff
	v_fma_f32 v9, -v6, v7, 1.0
	v_fmac_f32_e32 v7, v9, v7
	s_delay_alu instid0(VALU_DEP_1) | instskip(NEXT) | instid1(VALU_DEP_1)
	v_mul_f32_e32 v9, v11, v7
	v_fma_f32 v12, -v6, v9, v11
	s_delay_alu instid0(VALU_DEP_1) | instskip(NEXT) | instid1(VALU_DEP_1)
	v_fmac_f32_e32 v9, v12, v7
	v_fma_f32 v6, -v6, v9, v11
	s_delay_alu instid0(VALU_DEP_1) | instskip(SKIP_2) | instid1(VALU_DEP_3)
	v_div_fmas_f32 v9, v6, v7, v9
	v_add_co_u32 v6, vcc_lo, v2, s2
	v_add_co_ci_u32_e32 v7, vcc_lo, s3, v3, vcc_lo
	v_div_fixup_f32 v8, v9, v10, v8
	s_add_u32 s2, s2, 32
	s_addc_u32 s3, s3, 0
	s_add_u32 s4, s4, -8
	s_addc_u32 s5, s5, -1
	global_store_b32 v[6:7], v8, off
	flat_load_b32 v8, v[4:5] offset:4
	s_cmp_lg_u64 s[4:5], 0
	s_waitcnt vmcnt(0) lgkmcnt(0)
	v_div_scale_f32 v9, null, v10, v10, v8
	v_div_scale_f32 v13, vcc_lo, v8, v10, v8
	s_delay_alu instid0(VALU_DEP_2) | instskip(SKIP_2) | instid1(VALU_DEP_1)
	v_rcp_f32_e32 v11, v9
	s_waitcnt_depctr 0xfff
	v_fma_f32 v12, -v9, v11, 1.0
	v_fmac_f32_e32 v11, v12, v11
	s_delay_alu instid0(VALU_DEP_1) | instskip(NEXT) | instid1(VALU_DEP_1)
	v_mul_f32_e32 v12, v13, v11
	v_fma_f32 v14, -v9, v12, v13
	s_delay_alu instid0(VALU_DEP_1) | instskip(NEXT) | instid1(VALU_DEP_1)
	v_fmac_f32_e32 v12, v14, v11
	v_fma_f32 v9, -v9, v12, v13
	s_delay_alu instid0(VALU_DEP_1) | instskip(NEXT) | instid1(VALU_DEP_1)
	v_div_fmas_f32 v9, v9, v11, v12
	v_div_fixup_f32 v8, v9, v10, v8
	global_store_b32 v[6:7], v8, off offset:4
	flat_load_b32 v8, v[4:5] offset:8
	s_waitcnt vmcnt(0) lgkmcnt(0)
	v_div_scale_f32 v9, null, v10, v10, v8
	v_div_scale_f32 v13, vcc_lo, v8, v10, v8
	s_delay_alu instid0(VALU_DEP_2) | instskip(SKIP_2) | instid1(VALU_DEP_1)
	v_rcp_f32_e32 v11, v9
	s_waitcnt_depctr 0xfff
	v_fma_f32 v12, -v9, v11, 1.0
	v_fmac_f32_e32 v11, v12, v11
	s_delay_alu instid0(VALU_DEP_1) | instskip(NEXT) | instid1(VALU_DEP_1)
	v_mul_f32_e32 v12, v13, v11
	v_fma_f32 v14, -v9, v12, v13
	s_delay_alu instid0(VALU_DEP_1) | instskip(NEXT) | instid1(VALU_DEP_1)
	v_fmac_f32_e32 v12, v14, v11
	v_fma_f32 v9, -v9, v12, v13
	s_delay_alu instid0(VALU_DEP_1) | instskip(NEXT) | instid1(VALU_DEP_1)
	v_div_fmas_f32 v9, v9, v11, v12
	v_div_fixup_f32 v8, v9, v10, v8
	global_store_b32 v[6:7], v8, off offset:8
	flat_load_b32 v8, v[4:5] offset:12
	;; [unrolled: 19-line block ×6, first 2 shown]
	s_waitcnt vmcnt(0) lgkmcnt(0)
	v_div_scale_f32 v5, null, v10, v10, v4
	v_div_scale_f32 v11, vcc_lo, v4, v10, v4
	s_delay_alu instid0(VALU_DEP_2) | instskip(SKIP_2) | instid1(VALU_DEP_1)
	v_rcp_f32_e32 v8, v5
	s_waitcnt_depctr 0xfff
	v_fma_f32 v9, -v5, v8, 1.0
	v_fmac_f32_e32 v8, v9, v8
	s_delay_alu instid0(VALU_DEP_1) | instskip(NEXT) | instid1(VALU_DEP_1)
	v_mul_f32_e32 v9, v11, v8
	v_fma_f32 v12, -v5, v9, v11
	s_delay_alu instid0(VALU_DEP_1) | instskip(NEXT) | instid1(VALU_DEP_1)
	v_fmac_f32_e32 v9, v12, v8
	v_fma_f32 v5, -v5, v9, v11
	s_delay_alu instid0(VALU_DEP_1) | instskip(NEXT) | instid1(VALU_DEP_1)
	v_div_fmas_f32 v5, v5, v8, v9
	v_div_fixup_f32 v4, v5, v10, v4
	global_store_b32 v[6:7], v4, off offset:28
	s_cbranch_scc1 .LBB12_213
.LBB12_214:
	s_and_b32 s2, s48, 7
	s_mov_b32 s3, 0
	s_delay_alu instid0(SALU_CYCLE_1)
	s_cmp_eq_u64 s[2:3], 0
	s_cbranch_scc1 .LBB12_217
; %bb.215:
	s_mov_b64 s[4:5], s[2:3]
	s_set_inst_prefetch_distance 0x1
	.p2align	6
.LBB12_216:                             ; =>This Inner Loop Header: Depth=1
	s_lshl_b64 s[6:7], s[0:1], 2
	s_add_i32 s2, s0, 1
	v_add_co_u32 v4, vcc_lo, v0, s6
	v_add_co_ci_u32_e32 v5, vcc_lo, s7, v1, vcc_lo
	s_add_u32 s4, s4, -1
	s_addc_u32 s5, s5, -1
	s_mov_b64 s[0:1], s[2:3]
	flat_load_b32 v6, v[4:5]
	s_cmp_lg_u64 s[4:5], 0
	s_waitcnt vmcnt(0) lgkmcnt(0)
	v_div_scale_f32 v4, null, v10, v10, v6
	v_div_scale_f32 v8, vcc_lo, v6, v10, v6
	s_delay_alu instid0(VALU_DEP_2) | instskip(SKIP_2) | instid1(VALU_DEP_1)
	v_rcp_f32_e32 v5, v4
	s_waitcnt_depctr 0xfff
	v_fma_f32 v7, -v4, v5, 1.0
	v_fmac_f32_e32 v5, v7, v5
	s_delay_alu instid0(VALU_DEP_1) | instskip(NEXT) | instid1(VALU_DEP_1)
	v_mul_f32_e32 v7, v8, v5
	v_fma_f32 v9, -v4, v7, v8
	s_delay_alu instid0(VALU_DEP_1) | instskip(NEXT) | instid1(VALU_DEP_1)
	v_fmac_f32_e32 v7, v9, v5
	v_fma_f32 v4, -v4, v7, v8
	s_delay_alu instid0(VALU_DEP_1) | instskip(SKIP_2) | instid1(VALU_DEP_3)
	v_div_fmas_f32 v7, v4, v5, v7
	v_add_co_u32 v4, vcc_lo, v2, s6
	v_add_co_ci_u32_e32 v5, vcc_lo, s7, v3, vcc_lo
	v_div_fixup_f32 v6, v7, v10, v6
	global_store_b32 v[4:5], v6, off
	s_cbranch_scc1 .LBB12_216
.LBB12_217:
	s_set_inst_prefetch_distance 0x2
	s_nop 0
	s_sendmsg sendmsg(MSG_DEALLOC_VGPRS)
	s_endpgm
	.section	.rodata,"a",@progbits
	.p2align	6, 0x0
	.amdhsa_kernel _Z21moe_fused_gate_kernelIfLi32ELi128ELi4ELi1EEvPvS0_PfPilllldi
		.amdhsa_group_segment_fixed_size 0
		.amdhsa_private_segment_fixed_size 0
		.amdhsa_kernarg_size 76
		.amdhsa_user_sgpr_count 15
		.amdhsa_user_sgpr_dispatch_ptr 0
		.amdhsa_user_sgpr_queue_ptr 0
		.amdhsa_user_sgpr_kernarg_segment_ptr 1
		.amdhsa_user_sgpr_dispatch_id 0
		.amdhsa_user_sgpr_private_segment_size 0
		.amdhsa_wavefront_size32 1
		.amdhsa_uses_dynamic_stack 0
		.amdhsa_enable_private_segment 0
		.amdhsa_system_sgpr_workgroup_id_x 1
		.amdhsa_system_sgpr_workgroup_id_y 0
		.amdhsa_system_sgpr_workgroup_id_z 0
		.amdhsa_system_sgpr_workgroup_info 0
		.amdhsa_system_vgpr_workitem_id 1
		.amdhsa_next_free_vgpr 81
		.amdhsa_next_free_sgpr 52
		.amdhsa_reserve_vcc 1
		.amdhsa_float_round_mode_32 0
		.amdhsa_float_round_mode_16_64 0
		.amdhsa_float_denorm_mode_32 3
		.amdhsa_float_denorm_mode_16_64 3
		.amdhsa_dx10_clamp 1
		.amdhsa_ieee_mode 1
		.amdhsa_fp16_overflow 0
		.amdhsa_workgroup_processor_mode 1
		.amdhsa_memory_ordered 1
		.amdhsa_forward_progress 0
		.amdhsa_shared_vgpr_count 0
		.amdhsa_exception_fp_ieee_invalid_op 0
		.amdhsa_exception_fp_denorm_src 0
		.amdhsa_exception_fp_ieee_div_zero 0
		.amdhsa_exception_fp_ieee_overflow 0
		.amdhsa_exception_fp_ieee_underflow 0
		.amdhsa_exception_fp_ieee_inexact 0
		.amdhsa_exception_int_div_zero 0
	.end_amdhsa_kernel
	.section	.text._Z21moe_fused_gate_kernelIfLi32ELi128ELi4ELi1EEvPvS0_PfPilllldi,"axG",@progbits,_Z21moe_fused_gate_kernelIfLi32ELi128ELi4ELi1EEvPvS0_PfPilllldi,comdat
.Lfunc_end12:
	.size	_Z21moe_fused_gate_kernelIfLi32ELi128ELi4ELi1EEvPvS0_PfPilllldi, .Lfunc_end12-_Z21moe_fused_gate_kernelIfLi32ELi128ELi4ELi1EEvPvS0_PfPilllldi
                                        ; -- End function
	.section	.AMDGPU.csdata,"",@progbits
; Kernel info:
; codeLenInByte = 13508
; NumSgprs: 54
; NumVgprs: 81
; ScratchSize: 0
; MemoryBound: 1
; FloatMode: 240
; IeeeMode: 1
; LDSByteSize: 0 bytes/workgroup (compile time only)
; SGPRBlocks: 6
; VGPRBlocks: 10
; NumSGPRsForWavesPerEU: 54
; NumVGPRsForWavesPerEU: 81
; Occupancy: 16
; WaveLimiterHint : 0
; COMPUTE_PGM_RSRC2:SCRATCH_EN: 0
; COMPUTE_PGM_RSRC2:USER_SGPR: 15
; COMPUTE_PGM_RSRC2:TRAP_HANDLER: 0
; COMPUTE_PGM_RSRC2:TGID_X_EN: 1
; COMPUTE_PGM_RSRC2:TGID_Y_EN: 0
; COMPUTE_PGM_RSRC2:TGID_Z_EN: 0
; COMPUTE_PGM_RSRC2:TIDIG_COMP_CNT: 1
	.section	.text._Z21moe_fused_gate_kernelItLi16ELi128ELi8ELi1EEvPvS0_PfPilllldi,"axG",@progbits,_Z21moe_fused_gate_kernelItLi16ELi128ELi8ELi1EEvPvS0_PfPilllldi,comdat
	.protected	_Z21moe_fused_gate_kernelItLi16ELi128ELi8ELi1EEvPvS0_PfPilllldi ; -- Begin function _Z21moe_fused_gate_kernelItLi16ELi128ELi8ELi1EEvPvS0_PfPilllldi
	.globl	_Z21moe_fused_gate_kernelItLi16ELi128ELi8ELi1EEvPvS0_PfPilllldi
	.p2align	8
	.type	_Z21moe_fused_gate_kernelItLi16ELi128ELi8ELi1EEvPvS0_PfPilllldi,@function
_Z21moe_fused_gate_kernelItLi16ELi128ELi8ELi1EEvPvS0_PfPilllldi: ; @_Z21moe_fused_gate_kernelItLi16ELi128ELi8ELi1EEvPvS0_PfPilllldi
; %bb.0:
	s_load_b512 s[16:31], s[0:1], 0x0
	v_bfe_u32 v1, v0, 10, 10
	v_dual_mov_b32 v19, 0 :: v_dual_and_b32 v0, 0x3ff, v0
	s_mov_b32 s2, exec_lo
	s_delay_alu instid0(VALU_DEP_2) | instskip(NEXT) | instid1(VALU_DEP_2)
	v_add_nc_u32_e32 v1, s15, v1
	v_lshrrev_b32_e32 v23, 3, v0
	s_delay_alu instid0(VALU_DEP_3) | instskip(NEXT) | instid1(VALU_DEP_2)
	v_mov_b32_e32 v17, v19
	v_lshl_add_u32 v16, v1, 2, v23
	s_waitcnt lgkmcnt(0)
	s_delay_alu instid0(VALU_DEP_1)
	v_cmpx_gt_i64_e64 s[24:25], v[16:17]
	s_cbranch_execz .LBB13_121
; %bb.1:
	v_and_b32_e32 v18, 7, v0
	v_lshlrev_b64 v[0:1], 8, v[16:17]
	s_mov_b32 s2, exec_lo
	s_delay_alu instid0(VALU_DEP_2) | instskip(NEXT) | instid1(VALU_DEP_2)
	v_lshlrev_b32_e32 v4, 5, v18
	v_add_co_u32 v0, vcc_lo, s16, v0
	s_delay_alu instid0(VALU_DEP_3) | instskip(NEXT) | instid1(VALU_DEP_2)
	v_add_co_ci_u32_e32 v1, vcc_lo, s17, v1, vcc_lo
	v_add_co_u32 v0, vcc_lo, v0, v4
	s_delay_alu instid0(VALU_DEP_2)
	v_add_co_ci_u32_e32 v1, vcc_lo, 0, v1, vcc_lo
	s_clause 0x1
	global_load_b128 v[12:15], v[0:1], off
	global_load_b128 v[8:11], v[0:1], off offset:16
	s_clause 0x1
	global_load_b128 v[0:3], v4, s[18:19] offset:16
	global_load_b128 v[4:7], v4, s[18:19]
	s_waitcnt vmcnt(3)
	v_lshlrev_b32_e32 v20, 16, v12
	s_delay_alu instid0(VALU_DEP_1)
	v_cmpx_o_f32_e32 v20, v20
	s_cbranch_execz .LBB13_3
; %bb.2:
	v_mul_f32_e32 v19, 0xbfb8aa3b, v20
	v_cmp_nlt_f32_e32 vcc_lo, 0x42ce8ed0, v20
	s_delay_alu instid0(VALU_DEP_2) | instskip(SKIP_1) | instid1(VALU_DEP_1)
	v_rndne_f32_e32 v21, v19
	v_fma_f32 v22, 0xbfb8aa3b, v20, -v19
	v_dual_sub_f32 v19, v19, v21 :: v_dual_fmamk_f32 v22, v20, 0xb2a5705f, v22
	v_cvt_i32_f32_e32 v21, v21
	s_delay_alu instid0(VALU_DEP_2) | instskip(NEXT) | instid1(VALU_DEP_1)
	v_add_f32_e32 v19, v19, v22
	v_exp_f32_e32 v19, v19
	s_waitcnt_depctr 0xfff
	v_ldexp_f32 v19, v19, v21
	s_delay_alu instid0(VALU_DEP_1) | instskip(SKIP_1) | instid1(VALU_DEP_2)
	v_cndmask_b32_e32 v19, 0, v19, vcc_lo
	v_cmp_ngt_f32_e32 vcc_lo, 0xc2b17218, v20
	v_cndmask_b32_e32 v19, 0x7f800000, v19, vcc_lo
	s_delay_alu instid0(VALU_DEP_1) | instskip(NEXT) | instid1(VALU_DEP_1)
	v_add_f32_e32 v19, 1.0, v19
	v_div_scale_f32 v20, null, v19, v19, 1.0
	s_delay_alu instid0(VALU_DEP_1) | instskip(SKIP_2) | instid1(VALU_DEP_1)
	v_rcp_f32_e32 v21, v20
	s_waitcnt_depctr 0xfff
	v_fma_f32 v22, -v20, v21, 1.0
	v_fmac_f32_e32 v21, v22, v21
	v_div_scale_f32 v22, vcc_lo, 1.0, v19, 1.0
	s_delay_alu instid0(VALU_DEP_1) | instskip(NEXT) | instid1(VALU_DEP_1)
	v_mul_f32_e32 v24, v22, v21
	v_fma_f32 v25, -v20, v24, v22
	s_delay_alu instid0(VALU_DEP_1) | instskip(NEXT) | instid1(VALU_DEP_1)
	v_fmac_f32_e32 v24, v25, v21
	v_fma_f32 v20, -v20, v24, v22
	s_delay_alu instid0(VALU_DEP_1) | instskip(NEXT) | instid1(VALU_DEP_1)
	v_div_fmas_f32 v20, v20, v21, v24
	v_div_fixup_f32 v19, v20, v19, 1.0
.LBB13_3:
	s_or_b32 exec_lo, exec_lo, s2
	v_dual_mov_b32 v12, 0 :: v_dual_and_b32 v21, 0xffff0000, v12
	v_mov_b32_e32 v20, 0
	s_mov_b32 s2, exec_lo
	s_delay_alu instid0(VALU_DEP_2)
	v_cmpx_o_f32_e32 v21, v21
	s_cbranch_execz .LBB13_5
; %bb.4:
	v_mul_f32_e32 v20, 0xbfb8aa3b, v21
	v_cmp_nlt_f32_e32 vcc_lo, 0x42ce8ed0, v21
	s_delay_alu instid0(VALU_DEP_2) | instskip(SKIP_1) | instid1(VALU_DEP_2)
	v_rndne_f32_e32 v22, v20
	v_fma_f32 v24, 0xbfb8aa3b, v21, -v20
	v_sub_f32_e32 v20, v20, v22
	s_delay_alu instid0(VALU_DEP_2) | instskip(SKIP_1) | instid1(VALU_DEP_2)
	v_fmamk_f32 v24, v21, 0xb2a5705f, v24
	v_cvt_i32_f32_e32 v22, v22
	v_add_f32_e32 v20, v20, v24
	s_delay_alu instid0(VALU_DEP_1) | instskip(SKIP_2) | instid1(VALU_DEP_1)
	v_exp_f32_e32 v20, v20
	s_waitcnt_depctr 0xfff
	v_ldexp_f32 v20, v20, v22
	v_cndmask_b32_e32 v20, 0, v20, vcc_lo
	v_cmp_ngt_f32_e32 vcc_lo, 0xc2b17218, v21
	s_delay_alu instid0(VALU_DEP_2) | instskip(NEXT) | instid1(VALU_DEP_1)
	v_cndmask_b32_e32 v20, 0x7f800000, v20, vcc_lo
	v_add_f32_e32 v20, 1.0, v20
	s_delay_alu instid0(VALU_DEP_1) | instskip(NEXT) | instid1(VALU_DEP_1)
	v_div_scale_f32 v21, null, v20, v20, 1.0
	v_rcp_f32_e32 v22, v21
	s_waitcnt_depctr 0xfff
	v_fma_f32 v24, -v21, v22, 1.0
	s_delay_alu instid0(VALU_DEP_1) | instskip(SKIP_1) | instid1(VALU_DEP_1)
	v_fmac_f32_e32 v22, v24, v22
	v_div_scale_f32 v24, vcc_lo, 1.0, v20, 1.0
	v_mul_f32_e32 v25, v24, v22
	s_delay_alu instid0(VALU_DEP_1) | instskip(NEXT) | instid1(VALU_DEP_1)
	v_fma_f32 v26, -v21, v25, v24
	v_fmac_f32_e32 v25, v26, v22
	s_delay_alu instid0(VALU_DEP_1) | instskip(NEXT) | instid1(VALU_DEP_1)
	v_fma_f32 v21, -v21, v25, v24
	v_div_fmas_f32 v21, v21, v22, v25
	s_delay_alu instid0(VALU_DEP_1)
	v_div_fixup_f32 v20, v21, v20, 1.0
.LBB13_5:
	s_or_b32 exec_lo, exec_lo, s2
	v_lshlrev_b32_e32 v21, 16, v13
	s_mov_b32 s2, exec_lo
	s_delay_alu instid0(VALU_DEP_1)
	v_cmpx_o_f32_e32 v21, v21
	s_cbranch_execz .LBB13_7
; %bb.6:
	v_mul_f32_e32 v12, 0xbfb8aa3b, v21
	v_cmp_nlt_f32_e32 vcc_lo, 0x42ce8ed0, v21
	s_delay_alu instid0(VALU_DEP_2) | instskip(SKIP_1) | instid1(VALU_DEP_2)
	v_rndne_f32_e32 v22, v12
	v_fma_f32 v24, 0xbfb8aa3b, v21, -v12
	v_sub_f32_e32 v12, v12, v22
	s_delay_alu instid0(VALU_DEP_2) | instskip(SKIP_1) | instid1(VALU_DEP_2)
	v_fmamk_f32 v24, v21, 0xb2a5705f, v24
	v_cvt_i32_f32_e32 v22, v22
	v_add_f32_e32 v12, v12, v24
	s_delay_alu instid0(VALU_DEP_1) | instskip(SKIP_2) | instid1(VALU_DEP_1)
	v_exp_f32_e32 v12, v12
	s_waitcnt_depctr 0xfff
	v_ldexp_f32 v12, v12, v22
	v_cndmask_b32_e32 v12, 0, v12, vcc_lo
	v_cmp_ngt_f32_e32 vcc_lo, 0xc2b17218, v21
	s_delay_alu instid0(VALU_DEP_2) | instskip(NEXT) | instid1(VALU_DEP_1)
	v_cndmask_b32_e32 v12, 0x7f800000, v12, vcc_lo
	v_add_f32_e32 v12, 1.0, v12
	s_delay_alu instid0(VALU_DEP_1) | instskip(NEXT) | instid1(VALU_DEP_1)
	v_div_scale_f32 v21, null, v12, v12, 1.0
	v_rcp_f32_e32 v22, v21
	s_waitcnt_depctr 0xfff
	v_fma_f32 v24, -v21, v22, 1.0
	s_delay_alu instid0(VALU_DEP_1) | instskip(SKIP_1) | instid1(VALU_DEP_1)
	v_fmac_f32_e32 v22, v24, v22
	v_div_scale_f32 v24, vcc_lo, 1.0, v12, 1.0
	v_mul_f32_e32 v25, v24, v22
	s_delay_alu instid0(VALU_DEP_1) | instskip(NEXT) | instid1(VALU_DEP_1)
	v_fma_f32 v26, -v21, v25, v24
	v_fmac_f32_e32 v25, v26, v22
	s_delay_alu instid0(VALU_DEP_1) | instskip(NEXT) | instid1(VALU_DEP_1)
	v_fma_f32 v21, -v21, v25, v24
	v_div_fmas_f32 v21, v21, v22, v25
	s_delay_alu instid0(VALU_DEP_1)
	v_div_fixup_f32 v12, v21, v12, 1.0
.LBB13_7:
	s_or_b32 exec_lo, exec_lo, s2
	v_dual_mov_b32 v13, 0 :: v_dual_and_b32 v22, 0xffff0000, v13
	v_mov_b32_e32 v21, 0
	s_mov_b32 s2, exec_lo
	s_delay_alu instid0(VALU_DEP_2)
	v_cmpx_o_f32_e32 v22, v22
	s_cbranch_execz .LBB13_9
; %bb.8:
	v_mul_f32_e32 v21, 0xbfb8aa3b, v22
	v_cmp_nlt_f32_e32 vcc_lo, 0x42ce8ed0, v22
	s_delay_alu instid0(VALU_DEP_2) | instskip(SKIP_1) | instid1(VALU_DEP_2)
	v_rndne_f32_e32 v24, v21
	v_fma_f32 v25, 0xbfb8aa3b, v22, -v21
	v_sub_f32_e32 v21, v21, v24
	s_delay_alu instid0(VALU_DEP_2) | instskip(SKIP_1) | instid1(VALU_DEP_2)
	v_fmamk_f32 v25, v22, 0xb2a5705f, v25
	v_cvt_i32_f32_e32 v24, v24
	v_add_f32_e32 v21, v21, v25
	s_delay_alu instid0(VALU_DEP_1) | instskip(SKIP_2) | instid1(VALU_DEP_1)
	v_exp_f32_e32 v21, v21
	s_waitcnt_depctr 0xfff
	v_ldexp_f32 v21, v21, v24
	v_cndmask_b32_e32 v21, 0, v21, vcc_lo
	v_cmp_ngt_f32_e32 vcc_lo, 0xc2b17218, v22
	s_delay_alu instid0(VALU_DEP_2) | instskip(NEXT) | instid1(VALU_DEP_1)
	v_cndmask_b32_e32 v21, 0x7f800000, v21, vcc_lo
	v_add_f32_e32 v21, 1.0, v21
	s_delay_alu instid0(VALU_DEP_1) | instskip(NEXT) | instid1(VALU_DEP_1)
	v_div_scale_f32 v22, null, v21, v21, 1.0
	v_rcp_f32_e32 v24, v22
	s_waitcnt_depctr 0xfff
	v_fma_f32 v25, -v22, v24, 1.0
	s_delay_alu instid0(VALU_DEP_1) | instskip(SKIP_1) | instid1(VALU_DEP_1)
	v_fmac_f32_e32 v24, v25, v24
	v_div_scale_f32 v25, vcc_lo, 1.0, v21, 1.0
	v_mul_f32_e32 v26, v25, v24
	s_delay_alu instid0(VALU_DEP_1) | instskip(NEXT) | instid1(VALU_DEP_1)
	v_fma_f32 v27, -v22, v26, v25
	v_fmac_f32_e32 v26, v27, v24
	s_delay_alu instid0(VALU_DEP_1) | instskip(NEXT) | instid1(VALU_DEP_1)
	v_fma_f32 v22, -v22, v26, v25
	v_div_fmas_f32 v22, v22, v24, v26
	s_delay_alu instid0(VALU_DEP_1)
	v_div_fixup_f32 v21, v22, v21, 1.0
.LBB13_9:
	s_or_b32 exec_lo, exec_lo, s2
	v_lshlrev_b32_e32 v22, 16, v14
	s_mov_b32 s2, exec_lo
	s_delay_alu instid0(VALU_DEP_1)
	v_cmpx_o_f32_e32 v22, v22
	s_cbranch_execz .LBB13_11
; %bb.10:
	v_mul_f32_e32 v13, 0xbfb8aa3b, v22
	v_cmp_nlt_f32_e32 vcc_lo, 0x42ce8ed0, v22
	s_delay_alu instid0(VALU_DEP_2) | instskip(SKIP_1) | instid1(VALU_DEP_2)
	v_rndne_f32_e32 v24, v13
	v_fma_f32 v25, 0xbfb8aa3b, v22, -v13
	v_sub_f32_e32 v13, v13, v24
	s_delay_alu instid0(VALU_DEP_2) | instskip(SKIP_1) | instid1(VALU_DEP_2)
	v_fmamk_f32 v25, v22, 0xb2a5705f, v25
	v_cvt_i32_f32_e32 v24, v24
	v_add_f32_e32 v13, v13, v25
	s_delay_alu instid0(VALU_DEP_1) | instskip(SKIP_2) | instid1(VALU_DEP_1)
	v_exp_f32_e32 v13, v13
	s_waitcnt_depctr 0xfff
	v_ldexp_f32 v13, v13, v24
	v_cndmask_b32_e32 v13, 0, v13, vcc_lo
	v_cmp_ngt_f32_e32 vcc_lo, 0xc2b17218, v22
	s_delay_alu instid0(VALU_DEP_2) | instskip(NEXT) | instid1(VALU_DEP_1)
	v_cndmask_b32_e32 v13, 0x7f800000, v13, vcc_lo
	v_add_f32_e32 v13, 1.0, v13
	s_delay_alu instid0(VALU_DEP_1) | instskip(NEXT) | instid1(VALU_DEP_1)
	v_div_scale_f32 v22, null, v13, v13, 1.0
	v_rcp_f32_e32 v24, v22
	s_waitcnt_depctr 0xfff
	v_fma_f32 v25, -v22, v24, 1.0
	s_delay_alu instid0(VALU_DEP_1) | instskip(SKIP_1) | instid1(VALU_DEP_1)
	v_fmac_f32_e32 v24, v25, v24
	v_div_scale_f32 v25, vcc_lo, 1.0, v13, 1.0
	v_mul_f32_e32 v26, v25, v24
	s_delay_alu instid0(VALU_DEP_1) | instskip(NEXT) | instid1(VALU_DEP_1)
	v_fma_f32 v27, -v22, v26, v25
	v_fmac_f32_e32 v26, v27, v24
	s_delay_alu instid0(VALU_DEP_1) | instskip(NEXT) | instid1(VALU_DEP_1)
	v_fma_f32 v22, -v22, v26, v25
	v_div_fmas_f32 v22, v22, v24, v26
	s_delay_alu instid0(VALU_DEP_1)
	v_div_fixup_f32 v13, v22, v13, 1.0
.LBB13_11:
	s_or_b32 exec_lo, exec_lo, s2
	v_and_b32_e32 v24, 0xffff0000, v14
	v_mov_b32_e32 v14, 0
	v_mov_b32_e32 v22, 0
	s_mov_b32 s2, exec_lo
	s_delay_alu instid0(VALU_DEP_3)
	v_cmpx_o_f32_e32 v24, v24
	s_cbranch_execz .LBB13_13
; %bb.12:
	v_mul_f32_e32 v22, 0xbfb8aa3b, v24
	v_cmp_nlt_f32_e32 vcc_lo, 0x42ce8ed0, v24
	s_delay_alu instid0(VALU_DEP_2) | instskip(SKIP_1) | instid1(VALU_DEP_2)
	v_rndne_f32_e32 v25, v22
	v_fma_f32 v26, 0xbfb8aa3b, v24, -v22
	v_sub_f32_e32 v22, v22, v25
	s_delay_alu instid0(VALU_DEP_2) | instskip(SKIP_1) | instid1(VALU_DEP_2)
	v_fmamk_f32 v26, v24, 0xb2a5705f, v26
	v_cvt_i32_f32_e32 v25, v25
	v_add_f32_e32 v22, v22, v26
	s_delay_alu instid0(VALU_DEP_1) | instskip(SKIP_2) | instid1(VALU_DEP_1)
	v_exp_f32_e32 v22, v22
	s_waitcnt_depctr 0xfff
	v_ldexp_f32 v22, v22, v25
	v_cndmask_b32_e32 v22, 0, v22, vcc_lo
	v_cmp_ngt_f32_e32 vcc_lo, 0xc2b17218, v24
	s_delay_alu instid0(VALU_DEP_2) | instskip(NEXT) | instid1(VALU_DEP_1)
	v_cndmask_b32_e32 v22, 0x7f800000, v22, vcc_lo
	v_add_f32_e32 v22, 1.0, v22
	s_delay_alu instid0(VALU_DEP_1) | instskip(NEXT) | instid1(VALU_DEP_1)
	v_div_scale_f32 v24, null, v22, v22, 1.0
	v_rcp_f32_e32 v25, v24
	s_waitcnt_depctr 0xfff
	v_fma_f32 v26, -v24, v25, 1.0
	s_delay_alu instid0(VALU_DEP_1) | instskip(SKIP_1) | instid1(VALU_DEP_1)
	v_fmac_f32_e32 v25, v26, v25
	v_div_scale_f32 v26, vcc_lo, 1.0, v22, 1.0
	v_mul_f32_e32 v27, v26, v25
	s_delay_alu instid0(VALU_DEP_1) | instskip(NEXT) | instid1(VALU_DEP_1)
	v_fma_f32 v28, -v24, v27, v26
	v_fmac_f32_e32 v27, v28, v25
	s_delay_alu instid0(VALU_DEP_1) | instskip(NEXT) | instid1(VALU_DEP_1)
	v_fma_f32 v24, -v24, v27, v26
	v_div_fmas_f32 v24, v24, v25, v27
	s_delay_alu instid0(VALU_DEP_1)
	v_div_fixup_f32 v22, v24, v22, 1.0
.LBB13_13:
	s_or_b32 exec_lo, exec_lo, s2
	v_lshlrev_b32_e32 v24, 16, v15
	s_mov_b32 s2, exec_lo
	s_delay_alu instid0(VALU_DEP_1)
	v_cmpx_o_f32_e32 v24, v24
	s_cbranch_execz .LBB13_15
; %bb.14:
	v_mul_f32_e32 v14, 0xbfb8aa3b, v24
	v_cmp_nlt_f32_e32 vcc_lo, 0x42ce8ed0, v24
	s_delay_alu instid0(VALU_DEP_2) | instskip(SKIP_1) | instid1(VALU_DEP_2)
	v_rndne_f32_e32 v25, v14
	v_fma_f32 v26, 0xbfb8aa3b, v24, -v14
	v_sub_f32_e32 v14, v14, v25
	s_delay_alu instid0(VALU_DEP_2) | instskip(SKIP_1) | instid1(VALU_DEP_2)
	v_fmamk_f32 v26, v24, 0xb2a5705f, v26
	v_cvt_i32_f32_e32 v25, v25
	v_add_f32_e32 v14, v14, v26
	s_delay_alu instid0(VALU_DEP_1) | instskip(SKIP_2) | instid1(VALU_DEP_1)
	v_exp_f32_e32 v14, v14
	s_waitcnt_depctr 0xfff
	v_ldexp_f32 v14, v14, v25
	v_cndmask_b32_e32 v14, 0, v14, vcc_lo
	v_cmp_ngt_f32_e32 vcc_lo, 0xc2b17218, v24
	s_delay_alu instid0(VALU_DEP_2) | instskip(NEXT) | instid1(VALU_DEP_1)
	v_cndmask_b32_e32 v14, 0x7f800000, v14, vcc_lo
	v_add_f32_e32 v14, 1.0, v14
	s_delay_alu instid0(VALU_DEP_1) | instskip(NEXT) | instid1(VALU_DEP_1)
	v_div_scale_f32 v24, null, v14, v14, 1.0
	v_rcp_f32_e32 v25, v24
	s_waitcnt_depctr 0xfff
	v_fma_f32 v26, -v24, v25, 1.0
	s_delay_alu instid0(VALU_DEP_1) | instskip(SKIP_1) | instid1(VALU_DEP_1)
	v_fmac_f32_e32 v25, v26, v25
	v_div_scale_f32 v26, vcc_lo, 1.0, v14, 1.0
	v_mul_f32_e32 v27, v26, v25
	s_delay_alu instid0(VALU_DEP_1) | instskip(NEXT) | instid1(VALU_DEP_1)
	v_fma_f32 v28, -v24, v27, v26
	v_fmac_f32_e32 v27, v28, v25
	s_delay_alu instid0(VALU_DEP_1) | instskip(NEXT) | instid1(VALU_DEP_1)
	v_fma_f32 v24, -v24, v27, v26
	v_div_fmas_f32 v24, v24, v25, v27
	s_delay_alu instid0(VALU_DEP_1)
	v_div_fixup_f32 v14, v24, v14, 1.0
.LBB13_15:
	s_or_b32 exec_lo, exec_lo, s2
	v_dual_mov_b32 v24, 0 :: v_dual_and_b32 v25, 0xffff0000, v15
	v_mov_b32_e32 v15, 0
	s_mov_b32 s2, exec_lo
	s_delay_alu instid0(VALU_DEP_2)
	v_cmpx_o_f32_e32 v25, v25
	s_cbranch_execz .LBB13_17
; %bb.16:
	v_mul_f32_e32 v24, 0xbfb8aa3b, v25
	v_cmp_nlt_f32_e32 vcc_lo, 0x42ce8ed0, v25
	s_delay_alu instid0(VALU_DEP_2) | instskip(SKIP_1) | instid1(VALU_DEP_1)
	v_rndne_f32_e32 v26, v24
	v_fma_f32 v27, 0xbfb8aa3b, v25, -v24
	v_dual_sub_f32 v24, v24, v26 :: v_dual_fmamk_f32 v27, v25, 0xb2a5705f, v27
	v_cvt_i32_f32_e32 v26, v26
	s_delay_alu instid0(VALU_DEP_2) | instskip(NEXT) | instid1(VALU_DEP_1)
	v_add_f32_e32 v24, v24, v27
	v_exp_f32_e32 v24, v24
	s_waitcnt_depctr 0xfff
	v_ldexp_f32 v24, v24, v26
	s_delay_alu instid0(VALU_DEP_1) | instskip(SKIP_1) | instid1(VALU_DEP_2)
	v_cndmask_b32_e32 v24, 0, v24, vcc_lo
	v_cmp_ngt_f32_e32 vcc_lo, 0xc2b17218, v25
	v_cndmask_b32_e32 v24, 0x7f800000, v24, vcc_lo
	s_delay_alu instid0(VALU_DEP_1) | instskip(NEXT) | instid1(VALU_DEP_1)
	v_add_f32_e32 v24, 1.0, v24
	v_div_scale_f32 v25, null, v24, v24, 1.0
	s_delay_alu instid0(VALU_DEP_1) | instskip(SKIP_2) | instid1(VALU_DEP_1)
	v_rcp_f32_e32 v26, v25
	s_waitcnt_depctr 0xfff
	v_fma_f32 v27, -v25, v26, 1.0
	v_fmac_f32_e32 v26, v27, v26
	v_div_scale_f32 v27, vcc_lo, 1.0, v24, 1.0
	s_delay_alu instid0(VALU_DEP_1) | instskip(NEXT) | instid1(VALU_DEP_1)
	v_mul_f32_e32 v28, v27, v26
	v_fma_f32 v29, -v25, v28, v27
	s_delay_alu instid0(VALU_DEP_1) | instskip(NEXT) | instid1(VALU_DEP_1)
	v_fmac_f32_e32 v28, v29, v26
	v_fma_f32 v25, -v25, v28, v27
	s_delay_alu instid0(VALU_DEP_1) | instskip(NEXT) | instid1(VALU_DEP_1)
	v_div_fmas_f32 v25, v25, v26, v28
	v_div_fixup_f32 v24, v25, v24, 1.0
.LBB13_17:
	s_or_b32 exec_lo, exec_lo, s2
	s_waitcnt vmcnt(2)
	v_lshlrev_b32_e32 v25, 16, v8
	s_mov_b32 s2, exec_lo
	s_delay_alu instid0(VALU_DEP_1)
	v_cmpx_o_f32_e32 v25, v25
	s_cbranch_execz .LBB13_19
; %bb.18:
	v_mul_f32_e32 v15, 0xbfb8aa3b, v25
	v_cmp_nlt_f32_e32 vcc_lo, 0x42ce8ed0, v25
	s_delay_alu instid0(VALU_DEP_2) | instskip(SKIP_1) | instid1(VALU_DEP_2)
	v_rndne_f32_e32 v26, v15
	v_fma_f32 v27, 0xbfb8aa3b, v25, -v15
	v_sub_f32_e32 v15, v15, v26
	s_delay_alu instid0(VALU_DEP_2) | instskip(SKIP_1) | instid1(VALU_DEP_2)
	v_fmamk_f32 v27, v25, 0xb2a5705f, v27
	v_cvt_i32_f32_e32 v26, v26
	v_add_f32_e32 v15, v15, v27
	s_delay_alu instid0(VALU_DEP_1) | instskip(SKIP_2) | instid1(VALU_DEP_1)
	v_exp_f32_e32 v15, v15
	s_waitcnt_depctr 0xfff
	v_ldexp_f32 v15, v15, v26
	v_cndmask_b32_e32 v15, 0, v15, vcc_lo
	v_cmp_ngt_f32_e32 vcc_lo, 0xc2b17218, v25
	s_delay_alu instid0(VALU_DEP_2) | instskip(NEXT) | instid1(VALU_DEP_1)
	v_cndmask_b32_e32 v15, 0x7f800000, v15, vcc_lo
	v_add_f32_e32 v15, 1.0, v15
	s_delay_alu instid0(VALU_DEP_1) | instskip(NEXT) | instid1(VALU_DEP_1)
	v_div_scale_f32 v25, null, v15, v15, 1.0
	v_rcp_f32_e32 v26, v25
	s_waitcnt_depctr 0xfff
	v_fma_f32 v27, -v25, v26, 1.0
	s_delay_alu instid0(VALU_DEP_1) | instskip(SKIP_1) | instid1(VALU_DEP_1)
	v_fmac_f32_e32 v26, v27, v26
	v_div_scale_f32 v27, vcc_lo, 1.0, v15, 1.0
	v_mul_f32_e32 v28, v27, v26
	s_delay_alu instid0(VALU_DEP_1) | instskip(NEXT) | instid1(VALU_DEP_1)
	v_fma_f32 v29, -v25, v28, v27
	v_fmac_f32_e32 v28, v29, v26
	s_delay_alu instid0(VALU_DEP_1) | instskip(NEXT) | instid1(VALU_DEP_1)
	v_fma_f32 v25, -v25, v28, v27
	v_div_fmas_f32 v25, v25, v26, v28
	s_delay_alu instid0(VALU_DEP_1)
	v_div_fixup_f32 v15, v25, v15, 1.0
.LBB13_19:
	s_or_b32 exec_lo, exec_lo, s2
	v_dual_mov_b32 v25, 0 :: v_dual_and_b32 v26, 0xffff0000, v8
	v_mov_b32_e32 v8, 0
	s_mov_b32 s2, exec_lo
	s_delay_alu instid0(VALU_DEP_2)
	v_cmpx_o_f32_e32 v26, v26
	s_cbranch_execz .LBB13_21
; %bb.20:
	v_mul_f32_e32 v25, 0xbfb8aa3b, v26
	v_cmp_nlt_f32_e32 vcc_lo, 0x42ce8ed0, v26
	s_delay_alu instid0(VALU_DEP_2) | instskip(SKIP_1) | instid1(VALU_DEP_1)
	v_rndne_f32_e32 v27, v25
	v_fma_f32 v28, 0xbfb8aa3b, v26, -v25
	v_dual_sub_f32 v25, v25, v27 :: v_dual_fmamk_f32 v28, v26, 0xb2a5705f, v28
	v_cvt_i32_f32_e32 v27, v27
	s_delay_alu instid0(VALU_DEP_2) | instskip(NEXT) | instid1(VALU_DEP_1)
	v_add_f32_e32 v25, v25, v28
	v_exp_f32_e32 v25, v25
	s_waitcnt_depctr 0xfff
	v_ldexp_f32 v25, v25, v27
	s_delay_alu instid0(VALU_DEP_1) | instskip(SKIP_1) | instid1(VALU_DEP_2)
	v_cndmask_b32_e32 v25, 0, v25, vcc_lo
	v_cmp_ngt_f32_e32 vcc_lo, 0xc2b17218, v26
	v_cndmask_b32_e32 v25, 0x7f800000, v25, vcc_lo
	s_delay_alu instid0(VALU_DEP_1) | instskip(NEXT) | instid1(VALU_DEP_1)
	v_add_f32_e32 v25, 1.0, v25
	v_div_scale_f32 v26, null, v25, v25, 1.0
	s_delay_alu instid0(VALU_DEP_1) | instskip(SKIP_2) | instid1(VALU_DEP_1)
	v_rcp_f32_e32 v27, v26
	s_waitcnt_depctr 0xfff
	v_fma_f32 v28, -v26, v27, 1.0
	v_fmac_f32_e32 v27, v28, v27
	v_div_scale_f32 v28, vcc_lo, 1.0, v25, 1.0
	s_delay_alu instid0(VALU_DEP_1) | instskip(NEXT) | instid1(VALU_DEP_1)
	v_mul_f32_e32 v29, v28, v27
	v_fma_f32 v30, -v26, v29, v28
	s_delay_alu instid0(VALU_DEP_1) | instskip(NEXT) | instid1(VALU_DEP_1)
	v_fmac_f32_e32 v29, v30, v27
	v_fma_f32 v26, -v26, v29, v28
	s_delay_alu instid0(VALU_DEP_1) | instskip(NEXT) | instid1(VALU_DEP_1)
	v_div_fmas_f32 v26, v26, v27, v29
	v_div_fixup_f32 v25, v26, v25, 1.0
.LBB13_21:
	s_or_b32 exec_lo, exec_lo, s2
	v_lshlrev_b32_e32 v26, 16, v9
	s_mov_b32 s2, exec_lo
	s_delay_alu instid0(VALU_DEP_1)
	v_cmpx_o_f32_e32 v26, v26
	s_cbranch_execz .LBB13_23
; %bb.22:
	v_mul_f32_e32 v8, 0xbfb8aa3b, v26
	v_cmp_nlt_f32_e32 vcc_lo, 0x42ce8ed0, v26
	s_delay_alu instid0(VALU_DEP_2) | instskip(SKIP_1) | instid1(VALU_DEP_2)
	v_rndne_f32_e32 v27, v8
	v_fma_f32 v28, 0xbfb8aa3b, v26, -v8
	v_sub_f32_e32 v8, v8, v27
	s_delay_alu instid0(VALU_DEP_2) | instskip(SKIP_1) | instid1(VALU_DEP_2)
	v_fmamk_f32 v28, v26, 0xb2a5705f, v28
	v_cvt_i32_f32_e32 v27, v27
	v_add_f32_e32 v8, v8, v28
	s_delay_alu instid0(VALU_DEP_1) | instskip(SKIP_2) | instid1(VALU_DEP_1)
	v_exp_f32_e32 v8, v8
	s_waitcnt_depctr 0xfff
	v_ldexp_f32 v8, v8, v27
	v_cndmask_b32_e32 v8, 0, v8, vcc_lo
	v_cmp_ngt_f32_e32 vcc_lo, 0xc2b17218, v26
	s_delay_alu instid0(VALU_DEP_2) | instskip(NEXT) | instid1(VALU_DEP_1)
	v_cndmask_b32_e32 v8, 0x7f800000, v8, vcc_lo
	v_add_f32_e32 v8, 1.0, v8
	s_delay_alu instid0(VALU_DEP_1) | instskip(NEXT) | instid1(VALU_DEP_1)
	v_div_scale_f32 v26, null, v8, v8, 1.0
	v_rcp_f32_e32 v27, v26
	s_waitcnt_depctr 0xfff
	v_fma_f32 v28, -v26, v27, 1.0
	s_delay_alu instid0(VALU_DEP_1) | instskip(SKIP_1) | instid1(VALU_DEP_1)
	v_fmac_f32_e32 v27, v28, v27
	v_div_scale_f32 v28, vcc_lo, 1.0, v8, 1.0
	v_mul_f32_e32 v29, v28, v27
	s_delay_alu instid0(VALU_DEP_1) | instskip(NEXT) | instid1(VALU_DEP_1)
	v_fma_f32 v30, -v26, v29, v28
	v_fmac_f32_e32 v29, v30, v27
	s_delay_alu instid0(VALU_DEP_1) | instskip(NEXT) | instid1(VALU_DEP_1)
	v_fma_f32 v26, -v26, v29, v28
	v_div_fmas_f32 v26, v26, v27, v29
	s_delay_alu instid0(VALU_DEP_1)
	v_div_fixup_f32 v8, v26, v8, 1.0
.LBB13_23:
	s_or_b32 exec_lo, exec_lo, s2
	v_dual_mov_b32 v26, 0 :: v_dual_and_b32 v27, 0xffff0000, v9
	v_mov_b32_e32 v9, 0
	s_mov_b32 s2, exec_lo
	s_delay_alu instid0(VALU_DEP_2)
	v_cmpx_o_f32_e32 v27, v27
	s_cbranch_execz .LBB13_25
; %bb.24:
	v_mul_f32_e32 v26, 0xbfb8aa3b, v27
	v_cmp_nlt_f32_e32 vcc_lo, 0x42ce8ed0, v27
	s_delay_alu instid0(VALU_DEP_2) | instskip(SKIP_1) | instid1(VALU_DEP_1)
	v_rndne_f32_e32 v28, v26
	v_fma_f32 v29, 0xbfb8aa3b, v27, -v26
	v_dual_sub_f32 v26, v26, v28 :: v_dual_fmamk_f32 v29, v27, 0xb2a5705f, v29
	v_cvt_i32_f32_e32 v28, v28
	s_delay_alu instid0(VALU_DEP_2) | instskip(NEXT) | instid1(VALU_DEP_1)
	v_add_f32_e32 v26, v26, v29
	v_exp_f32_e32 v26, v26
	s_waitcnt_depctr 0xfff
	v_ldexp_f32 v26, v26, v28
	s_delay_alu instid0(VALU_DEP_1) | instskip(SKIP_1) | instid1(VALU_DEP_2)
	v_cndmask_b32_e32 v26, 0, v26, vcc_lo
	v_cmp_ngt_f32_e32 vcc_lo, 0xc2b17218, v27
	v_cndmask_b32_e32 v26, 0x7f800000, v26, vcc_lo
	s_delay_alu instid0(VALU_DEP_1) | instskip(NEXT) | instid1(VALU_DEP_1)
	v_add_f32_e32 v26, 1.0, v26
	v_div_scale_f32 v27, null, v26, v26, 1.0
	s_delay_alu instid0(VALU_DEP_1) | instskip(SKIP_2) | instid1(VALU_DEP_1)
	v_rcp_f32_e32 v28, v27
	s_waitcnt_depctr 0xfff
	v_fma_f32 v29, -v27, v28, 1.0
	v_fmac_f32_e32 v28, v29, v28
	v_div_scale_f32 v29, vcc_lo, 1.0, v26, 1.0
	s_delay_alu instid0(VALU_DEP_1) | instskip(NEXT) | instid1(VALU_DEP_1)
	v_mul_f32_e32 v30, v29, v28
	v_fma_f32 v31, -v27, v30, v29
	s_delay_alu instid0(VALU_DEP_1) | instskip(NEXT) | instid1(VALU_DEP_1)
	v_fmac_f32_e32 v30, v31, v28
	v_fma_f32 v27, -v27, v30, v29
	s_delay_alu instid0(VALU_DEP_1) | instskip(NEXT) | instid1(VALU_DEP_1)
	v_div_fmas_f32 v27, v27, v28, v30
	v_div_fixup_f32 v26, v27, v26, 1.0
.LBB13_25:
	s_or_b32 exec_lo, exec_lo, s2
	v_lshlrev_b32_e32 v27, 16, v10
	s_mov_b32 s2, exec_lo
	s_delay_alu instid0(VALU_DEP_1)
	v_cmpx_o_f32_e32 v27, v27
	s_cbranch_execz .LBB13_27
; %bb.26:
	v_mul_f32_e32 v9, 0xbfb8aa3b, v27
	v_cmp_nlt_f32_e32 vcc_lo, 0x42ce8ed0, v27
	s_delay_alu instid0(VALU_DEP_2) | instskip(SKIP_1) | instid1(VALU_DEP_2)
	v_rndne_f32_e32 v28, v9
	v_fma_f32 v29, 0xbfb8aa3b, v27, -v9
	v_sub_f32_e32 v9, v9, v28
	s_delay_alu instid0(VALU_DEP_2) | instskip(SKIP_1) | instid1(VALU_DEP_2)
	v_fmamk_f32 v29, v27, 0xb2a5705f, v29
	v_cvt_i32_f32_e32 v28, v28
	v_add_f32_e32 v9, v9, v29
	s_delay_alu instid0(VALU_DEP_1) | instskip(SKIP_2) | instid1(VALU_DEP_1)
	v_exp_f32_e32 v9, v9
	s_waitcnt_depctr 0xfff
	v_ldexp_f32 v9, v9, v28
	v_cndmask_b32_e32 v9, 0, v9, vcc_lo
	v_cmp_ngt_f32_e32 vcc_lo, 0xc2b17218, v27
	s_delay_alu instid0(VALU_DEP_2) | instskip(NEXT) | instid1(VALU_DEP_1)
	v_cndmask_b32_e32 v9, 0x7f800000, v9, vcc_lo
	v_add_f32_e32 v9, 1.0, v9
	s_delay_alu instid0(VALU_DEP_1) | instskip(NEXT) | instid1(VALU_DEP_1)
	v_div_scale_f32 v27, null, v9, v9, 1.0
	v_rcp_f32_e32 v28, v27
	s_waitcnt_depctr 0xfff
	v_fma_f32 v29, -v27, v28, 1.0
	s_delay_alu instid0(VALU_DEP_1) | instskip(SKIP_1) | instid1(VALU_DEP_1)
	v_fmac_f32_e32 v28, v29, v28
	v_div_scale_f32 v29, vcc_lo, 1.0, v9, 1.0
	v_mul_f32_e32 v30, v29, v28
	s_delay_alu instid0(VALU_DEP_1) | instskip(NEXT) | instid1(VALU_DEP_1)
	v_fma_f32 v31, -v27, v30, v29
	v_fmac_f32_e32 v30, v31, v28
	s_delay_alu instid0(VALU_DEP_1) | instskip(NEXT) | instid1(VALU_DEP_1)
	v_fma_f32 v27, -v27, v30, v29
	v_div_fmas_f32 v27, v27, v28, v30
	s_delay_alu instid0(VALU_DEP_1)
	v_div_fixup_f32 v9, v27, v9, 1.0
.LBB13_27:
	s_or_b32 exec_lo, exec_lo, s2
	v_dual_mov_b32 v27, 0 :: v_dual_and_b32 v28, 0xffff0000, v10
	v_mov_b32_e32 v10, 0
	s_mov_b32 s2, exec_lo
	s_delay_alu instid0(VALU_DEP_2)
	v_cmpx_o_f32_e32 v28, v28
	s_cbranch_execz .LBB13_29
; %bb.28:
	v_mul_f32_e32 v27, 0xbfb8aa3b, v28
	v_cmp_nlt_f32_e32 vcc_lo, 0x42ce8ed0, v28
	s_delay_alu instid0(VALU_DEP_2) | instskip(SKIP_1) | instid1(VALU_DEP_1)
	v_rndne_f32_e32 v29, v27
	v_fma_f32 v30, 0xbfb8aa3b, v28, -v27
	v_dual_sub_f32 v27, v27, v29 :: v_dual_fmamk_f32 v30, v28, 0xb2a5705f, v30
	v_cvt_i32_f32_e32 v29, v29
	s_delay_alu instid0(VALU_DEP_2) | instskip(NEXT) | instid1(VALU_DEP_1)
	v_add_f32_e32 v27, v27, v30
	v_exp_f32_e32 v27, v27
	s_waitcnt_depctr 0xfff
	v_ldexp_f32 v27, v27, v29
	s_delay_alu instid0(VALU_DEP_1) | instskip(SKIP_1) | instid1(VALU_DEP_2)
	v_cndmask_b32_e32 v27, 0, v27, vcc_lo
	v_cmp_ngt_f32_e32 vcc_lo, 0xc2b17218, v28
	v_cndmask_b32_e32 v27, 0x7f800000, v27, vcc_lo
	s_delay_alu instid0(VALU_DEP_1) | instskip(NEXT) | instid1(VALU_DEP_1)
	v_add_f32_e32 v27, 1.0, v27
	v_div_scale_f32 v28, null, v27, v27, 1.0
	s_delay_alu instid0(VALU_DEP_1) | instskip(SKIP_2) | instid1(VALU_DEP_1)
	v_rcp_f32_e32 v29, v28
	s_waitcnt_depctr 0xfff
	v_fma_f32 v30, -v28, v29, 1.0
	v_fmac_f32_e32 v29, v30, v29
	v_div_scale_f32 v30, vcc_lo, 1.0, v27, 1.0
	s_delay_alu instid0(VALU_DEP_1) | instskip(NEXT) | instid1(VALU_DEP_1)
	v_mul_f32_e32 v31, v30, v29
	v_fma_f32 v32, -v28, v31, v30
	s_delay_alu instid0(VALU_DEP_1) | instskip(NEXT) | instid1(VALU_DEP_1)
	v_fmac_f32_e32 v31, v32, v29
	v_fma_f32 v28, -v28, v31, v30
	s_delay_alu instid0(VALU_DEP_1) | instskip(NEXT) | instid1(VALU_DEP_1)
	v_div_fmas_f32 v28, v28, v29, v31
	v_div_fixup_f32 v27, v28, v27, 1.0
.LBB13_29:
	s_or_b32 exec_lo, exec_lo, s2
	v_lshlrev_b32_e32 v28, 16, v11
	s_mov_b32 s2, exec_lo
	s_delay_alu instid0(VALU_DEP_1)
	v_cmpx_o_f32_e32 v28, v28
	s_cbranch_execz .LBB13_31
; %bb.30:
	v_mul_f32_e32 v10, 0xbfb8aa3b, v28
	v_cmp_nlt_f32_e32 vcc_lo, 0x42ce8ed0, v28
	s_delay_alu instid0(VALU_DEP_2) | instskip(SKIP_1) | instid1(VALU_DEP_2)
	v_rndne_f32_e32 v29, v10
	v_fma_f32 v30, 0xbfb8aa3b, v28, -v10
	v_sub_f32_e32 v10, v10, v29
	s_delay_alu instid0(VALU_DEP_2) | instskip(SKIP_1) | instid1(VALU_DEP_2)
	v_fmamk_f32 v30, v28, 0xb2a5705f, v30
	v_cvt_i32_f32_e32 v29, v29
	v_add_f32_e32 v10, v10, v30
	s_delay_alu instid0(VALU_DEP_1) | instskip(SKIP_2) | instid1(VALU_DEP_1)
	v_exp_f32_e32 v10, v10
	s_waitcnt_depctr 0xfff
	v_ldexp_f32 v10, v10, v29
	v_cndmask_b32_e32 v10, 0, v10, vcc_lo
	v_cmp_ngt_f32_e32 vcc_lo, 0xc2b17218, v28
	s_delay_alu instid0(VALU_DEP_2) | instskip(NEXT) | instid1(VALU_DEP_1)
	v_cndmask_b32_e32 v10, 0x7f800000, v10, vcc_lo
	v_add_f32_e32 v10, 1.0, v10
	s_delay_alu instid0(VALU_DEP_1) | instskip(NEXT) | instid1(VALU_DEP_1)
	v_div_scale_f32 v28, null, v10, v10, 1.0
	v_rcp_f32_e32 v29, v28
	s_waitcnt_depctr 0xfff
	v_fma_f32 v30, -v28, v29, 1.0
	s_delay_alu instid0(VALU_DEP_1) | instskip(SKIP_1) | instid1(VALU_DEP_1)
	v_fmac_f32_e32 v29, v30, v29
	v_div_scale_f32 v30, vcc_lo, 1.0, v10, 1.0
	v_mul_f32_e32 v31, v30, v29
	s_delay_alu instid0(VALU_DEP_1) | instskip(NEXT) | instid1(VALU_DEP_1)
	v_fma_f32 v32, -v28, v31, v30
	v_fmac_f32_e32 v31, v32, v29
	s_delay_alu instid0(VALU_DEP_1) | instskip(NEXT) | instid1(VALU_DEP_1)
	v_fma_f32 v28, -v28, v31, v30
	v_div_fmas_f32 v28, v28, v29, v31
	s_delay_alu instid0(VALU_DEP_1)
	v_div_fixup_f32 v10, v28, v10, 1.0
.LBB13_31:
	s_or_b32 exec_lo, exec_lo, s2
	v_dual_mov_b32 v11, 0 :: v_dual_and_b32 v28, 0xffff0000, v11
	s_mov_b32 s2, exec_lo
	s_delay_alu instid0(VALU_DEP_1)
	v_cmpx_o_f32_e32 v28, v28
	s_cbranch_execz .LBB13_33
; %bb.32:
	v_mul_f32_e32 v11, 0xbfb8aa3b, v28
	v_cmp_nlt_f32_e32 vcc_lo, 0x42ce8ed0, v28
	s_delay_alu instid0(VALU_DEP_2) | instskip(SKIP_1) | instid1(VALU_DEP_1)
	v_rndne_f32_e32 v29, v11
	v_fma_f32 v30, 0xbfb8aa3b, v28, -v11
	v_dual_sub_f32 v11, v11, v29 :: v_dual_fmamk_f32 v30, v28, 0xb2a5705f, v30
	v_cvt_i32_f32_e32 v29, v29
	s_delay_alu instid0(VALU_DEP_2) | instskip(NEXT) | instid1(VALU_DEP_1)
	v_add_f32_e32 v11, v11, v30
	v_exp_f32_e32 v11, v11
	s_waitcnt_depctr 0xfff
	v_ldexp_f32 v11, v11, v29
	s_delay_alu instid0(VALU_DEP_1) | instskip(SKIP_1) | instid1(VALU_DEP_2)
	v_cndmask_b32_e32 v11, 0, v11, vcc_lo
	v_cmp_ngt_f32_e32 vcc_lo, 0xc2b17218, v28
	v_cndmask_b32_e32 v11, 0x7f800000, v11, vcc_lo
	s_delay_alu instid0(VALU_DEP_1) | instskip(NEXT) | instid1(VALU_DEP_1)
	v_add_f32_e32 v11, 1.0, v11
	v_div_scale_f32 v28, null, v11, v11, 1.0
	s_delay_alu instid0(VALU_DEP_1) | instskip(SKIP_2) | instid1(VALU_DEP_1)
	v_rcp_f32_e32 v29, v28
	s_waitcnt_depctr 0xfff
	v_fma_f32 v30, -v28, v29, 1.0
	v_fmac_f32_e32 v29, v30, v29
	v_div_scale_f32 v30, vcc_lo, 1.0, v11, 1.0
	s_delay_alu instid0(VALU_DEP_1) | instskip(NEXT) | instid1(VALU_DEP_1)
	v_mul_f32_e32 v31, v30, v29
	v_fma_f32 v32, -v28, v31, v30
	s_delay_alu instid0(VALU_DEP_1) | instskip(NEXT) | instid1(VALU_DEP_1)
	v_fmac_f32_e32 v31, v32, v29
	v_fma_f32 v28, -v28, v31, v30
	s_delay_alu instid0(VALU_DEP_1) | instskip(NEXT) | instid1(VALU_DEP_1)
	v_div_fmas_f32 v28, v28, v29, v31
	v_div_fixup_f32 v11, v28, v11, 1.0
.LBB13_33:
	s_or_b32 exec_lo, exec_lo, s2
	s_waitcnt vmcnt(0)
	v_lshlrev_b32_e32 v28, 16, v4
	v_and_b32_e32 v4, 0xffff0000, v4
	s_mov_b32 s2, exec_lo
	s_delay_alu instid0(VALU_DEP_1) | instskip(NEXT) | instid1(VALU_DEP_1)
	v_add_f32_e32 v29, v20, v4
	v_dual_mov_b32 v31, v29 :: v_dual_add_f32 v28, v19, v28
	s_delay_alu instid0(VALU_DEP_1) | instskip(NEXT) | instid1(VALU_DEP_1)
	v_max_f32_e32 v30, 0xff7fffff, v28
	v_mov_b32_e32 v4, v30
	v_cmpx_ngt_f32_e32 v29, v30
	s_cbranch_execz .LBB13_37
; %bb.34:
	v_mov_b32_e32 v4, 0xff7fffff
	s_mov_b32 s3, exec_lo
	v_cmpx_lt_f32_e32 0xff7fffff, v29
; %bb.35:
	v_mov_b32_e32 v4, v29
; %bb.36:
	s_or_b32 exec_lo, exec_lo, s3
	v_mov_b32_e32 v31, v30
.LBB13_37:
	s_or_b32 exec_lo, exec_lo, s2
	v_lshlrev_b32_e32 v30, 16, v5
	s_mov_b32 s2, exec_lo
	s_delay_alu instid0(VALU_DEP_1) | instskip(NEXT) | instid1(VALU_DEP_1)
	v_add_f32_e32 v30, v12, v30
	v_dual_mov_b32 v32, v31 :: v_dual_mov_b32 v33, v30
	v_cmpx_ngt_f32_e32 v30, v31
	s_cbranch_execz .LBB13_41
; %bb.38:
	s_mov_b32 s3, exec_lo
	v_cmpx_gt_f32_e32 v30, v4
; %bb.39:
	v_mov_b32_e32 v4, v30
; %bb.40:
	s_or_b32 exec_lo, exec_lo, s3
	s_delay_alu instid0(VALU_DEP_1)
	v_dual_mov_b32 v32, v4 :: v_dual_mov_b32 v33, v31
.LBB13_41:
	s_or_b32 exec_lo, exec_lo, s2
	v_and_b32_e32 v4, 0xffff0000, v5
	s_mov_b32 s2, exec_lo
	s_delay_alu instid0(VALU_DEP_1) | instskip(SKIP_1) | instid1(VALU_DEP_2)
	v_add_f32_e32 v31, v21, v4
	v_mov_b32_e32 v4, v33
	v_mov_b32_e32 v34, v31
	v_cmpx_ngt_f32_e32 v31, v33
	s_cbranch_execz .LBB13_45
; %bb.42:
	s_mov_b32 s3, exec_lo
	v_cmpx_gt_f32_e32 v31, v32
; %bb.43:
	v_mov_b32_e32 v32, v31
; %bb.44:
	s_or_b32 exec_lo, exec_lo, s3
	s_delay_alu instid0(VALU_DEP_1)
	v_mov_b32_e32 v4, v32
	v_mov_b32_e32 v34, v33
.LBB13_45:
	s_or_b32 exec_lo, exec_lo, s2
	v_lshlrev_b32_e32 v5, 16, v6
	s_mov_b32 s2, exec_lo
	s_delay_alu instid0(VALU_DEP_1) | instskip(NEXT) | instid1(VALU_DEP_1)
	v_dual_add_f32 v32, v13, v5 :: v_dual_mov_b32 v5, v34
	v_mov_b32_e32 v33, v32
	v_cmpx_ngt_f32_e32 v32, v34
	s_cbranch_execz .LBB13_49
; %bb.46:
	s_mov_b32 s3, exec_lo
	v_cmpx_gt_f32_e32 v32, v4
; %bb.47:
	v_mov_b32_e32 v4, v32
; %bb.48:
	s_or_b32 exec_lo, exec_lo, s3
	s_delay_alu instid0(VALU_DEP_1)
	v_mov_b32_e32 v5, v4
	v_mov_b32_e32 v33, v34
.LBB13_49:
	s_or_b32 exec_lo, exec_lo, s2
	v_and_b32_e32 v4, 0xffff0000, v6
	s_mov_b32 s2, exec_lo
	s_delay_alu instid0(VALU_DEP_1) | instskip(SKIP_1) | instid1(VALU_DEP_2)
	v_add_f32_e32 v6, v22, v4
	v_mov_b32_e32 v4, v33
	v_mov_b32_e32 v34, v6
	v_cmpx_ngt_f32_e32 v6, v33
	s_cbranch_execz .LBB13_53
; %bb.50:
	s_mov_b32 s3, exec_lo
	v_cmpx_gt_f32_e32 v6, v5
; %bb.51:
	v_mov_b32_e32 v5, v6
; %bb.52:
	s_or_b32 exec_lo, exec_lo, s3
	s_delay_alu instid0(VALU_DEP_1)
	v_mov_b32_e32 v4, v5
	v_mov_b32_e32 v34, v33
.LBB13_53:
	s_or_b32 exec_lo, exec_lo, s2
	v_lshlrev_b32_e32 v5, 16, v7
	s_mov_b32 s2, exec_lo
	s_delay_alu instid0(VALU_DEP_1) | instskip(SKIP_1) | instid1(VALU_DEP_2)
	v_add_f32_e32 v33, v14, v5
	v_mov_b32_e32 v5, v34
	v_mov_b32_e32 v35, v33
	v_cmpx_ngt_f32_e32 v33, v34
	s_cbranch_execz .LBB13_57
; %bb.54:
	s_mov_b32 s3, exec_lo
	v_cmpx_gt_f32_e32 v33, v4
; %bb.55:
	v_mov_b32_e32 v4, v33
; %bb.56:
	s_or_b32 exec_lo, exec_lo, s3
	s_delay_alu instid0(VALU_DEP_1)
	v_mov_b32_e32 v5, v4
	v_mov_b32_e32 v35, v34
.LBB13_57:
	s_or_b32 exec_lo, exec_lo, s2
	v_and_b32_e32 v4, 0xffff0000, v7
	s_mov_b32 s2, exec_lo
	s_delay_alu instid0(VALU_DEP_1) | instskip(NEXT) | instid1(VALU_DEP_1)
	v_dual_add_f32 v7, v24, v4 :: v_dual_mov_b32 v4, v35
	v_mov_b32_e32 v36, v7
	v_cmpx_ngt_f32_e32 v7, v35
	s_cbranch_execz .LBB13_61
; %bb.58:
	s_mov_b32 s3, exec_lo
	v_cmpx_gt_f32_e32 v7, v5
; %bb.59:
	v_mov_b32_e32 v5, v7
; %bb.60:
	s_or_b32 exec_lo, exec_lo, s3
	s_delay_alu instid0(VALU_DEP_1)
	v_mov_b32_e32 v4, v5
	v_mov_b32_e32 v36, v35
.LBB13_61:
	s_or_b32 exec_lo, exec_lo, s2
	v_lshlrev_b32_e32 v5, 16, v0
	s_mov_b32 s2, exec_lo
	s_delay_alu instid0(VALU_DEP_1) | instskip(NEXT) | instid1(VALU_DEP_1)
	v_dual_add_f32 v34, v15, v5 :: v_dual_mov_b32 v5, v36
	v_mov_b32_e32 v37, v34
	v_cmpx_ngt_f32_e32 v34, v36
	s_cbranch_execz .LBB13_65
; %bb.62:
	s_mov_b32 s3, exec_lo
	v_cmpx_gt_f32_e32 v34, v4
; %bb.63:
	v_mov_b32_e32 v4, v34
; %bb.64:
	s_or_b32 exec_lo, exec_lo, s3
	s_delay_alu instid0(VALU_DEP_1)
	v_mov_b32_e32 v5, v4
	v_mov_b32_e32 v37, v36
.LBB13_65:
	s_or_b32 exec_lo, exec_lo, s2
	v_and_b32_e32 v0, 0xffff0000, v0
	s_mov_b32 s2, exec_lo
	s_delay_alu instid0(VALU_DEP_1) | instskip(SKIP_1) | instid1(VALU_DEP_2)
	v_add_f32_e32 v35, v25, v0
	v_mov_b32_e32 v0, v37
	v_mov_b32_e32 v38, v35
	v_cmpx_ngt_f32_e32 v35, v37
	s_cbranch_execz .LBB13_69
; %bb.66:
	s_mov_b32 s3, exec_lo
	v_cmpx_gt_f32_e32 v35, v5
; %bb.67:
	v_mov_b32_e32 v5, v35
; %bb.68:
	s_or_b32 exec_lo, exec_lo, s3
	s_delay_alu instid0(VALU_DEP_1)
	v_mov_b32_e32 v0, v5
	v_mov_b32_e32 v38, v37
.LBB13_69:
	s_or_b32 exec_lo, exec_lo, s2
	v_lshlrev_b32_e32 v4, 16, v1
	s_mov_b32 s2, exec_lo
	s_delay_alu instid0(VALU_DEP_1) | instskip(NEXT) | instid1(VALU_DEP_1)
	v_add_f32_e32 v36, v8, v4
	v_dual_mov_b32 v4, v38 :: v_dual_mov_b32 v5, v36
	v_cmpx_ngt_f32_e32 v36, v38
	s_cbranch_execz .LBB13_73
; %bb.70:
	s_mov_b32 s3, exec_lo
	v_cmpx_gt_f32_e32 v36, v0
; %bb.71:
	v_mov_b32_e32 v0, v36
; %bb.72:
	s_or_b32 exec_lo, exec_lo, s3
	s_delay_alu instid0(VALU_DEP_1)
	v_dual_mov_b32 v4, v0 :: v_dual_mov_b32 v5, v38
.LBB13_73:
	s_or_b32 exec_lo, exec_lo, s2
	v_and_b32_e32 v0, 0xffff0000, v1
	s_mov_b32 s2, exec_lo
	s_delay_alu instid0(VALU_DEP_1) | instskip(NEXT) | instid1(VALU_DEP_1)
	v_dual_add_f32 v37, v26, v0 :: v_dual_mov_b32 v0, v5
	v_mov_b32_e32 v39, v37
	v_cmpx_ngt_f32_e32 v37, v5
	s_cbranch_execz .LBB13_77
; %bb.74:
	s_mov_b32 s3, exec_lo
	v_cmpx_gt_f32_e32 v37, v4
; %bb.75:
	v_mov_b32_e32 v4, v37
; %bb.76:
	s_or_b32 exec_lo, exec_lo, s3
	s_delay_alu instid0(VALU_DEP_1)
	v_dual_mov_b32 v0, v4 :: v_dual_mov_b32 v39, v5
.LBB13_77:
	s_or_b32 exec_lo, exec_lo, s2
	v_lshlrev_b32_e32 v1, 16, v2
	s_mov_b32 s2, exec_lo
	s_delay_alu instid0(VALU_DEP_1) | instskip(NEXT) | instid1(VALU_DEP_1)
	v_dual_add_f32 v38, v9, v1 :: v_dual_mov_b32 v1, v39
	v_mov_b32_e32 v4, v38
	v_cmpx_ngt_f32_e32 v38, v39
	s_cbranch_execz .LBB13_81
; %bb.78:
	s_mov_b32 s3, exec_lo
	v_cmpx_gt_f32_e32 v38, v0
; %bb.79:
	v_mov_b32_e32 v0, v38
; %bb.80:
	s_or_b32 exec_lo, exec_lo, s3
	s_delay_alu instid0(VALU_DEP_1)
	v_dual_mov_b32 v1, v0 :: v_dual_mov_b32 v4, v39
.LBB13_81:
	s_or_b32 exec_lo, exec_lo, s2
	v_and_b32_e32 v0, 0xffff0000, v2
	s_mov_b32 s2, exec_lo
	s_delay_alu instid0(VALU_DEP_1) | instskip(NEXT) | instid1(VALU_DEP_1)
	v_dual_add_f32 v39, v27, v0 :: v_dual_mov_b32 v0, v4
	v_mov_b32_e32 v2, v39
	v_cmpx_ngt_f32_e32 v39, v4
	s_cbranch_execz .LBB13_85
; %bb.82:
	s_mov_b32 s3, exec_lo
	v_cmpx_gt_f32_e32 v39, v1
; %bb.83:
	v_mov_b32_e32 v1, v39
; %bb.84:
	s_or_b32 exec_lo, exec_lo, s3
	s_delay_alu instid0(VALU_DEP_1)
	v_mov_b32_e32 v0, v1
	v_mov_b32_e32 v2, v4
.LBB13_85:
	s_or_b32 exec_lo, exec_lo, s2
	v_lshlrev_b32_e32 v1, 16, v3
	s_mov_b32 s2, exec_lo
	s_delay_alu instid0(VALU_DEP_1) | instskip(NEXT) | instid1(VALU_DEP_1)
	v_add_f32_e32 v40, v10, v1
	v_dual_mov_b32 v1, v2 :: v_dual_mov_b32 v4, v40
	v_cmpx_ngt_f32_e32 v40, v2
	s_cbranch_execz .LBB13_89
; %bb.86:
	s_mov_b32 s3, exec_lo
	v_cmpx_gt_f32_e32 v40, v0
; %bb.87:
	v_mov_b32_e32 v0, v40
; %bb.88:
	s_or_b32 exec_lo, exec_lo, s3
	s_delay_alu instid0(VALU_DEP_1)
	v_dual_mov_b32 v1, v0 :: v_dual_mov_b32 v4, v2
.LBB13_89:
	s_or_b32 exec_lo, exec_lo, s2
	v_and_b32_e32 v0, 0xffff0000, v3
	s_mov_b32 s2, exec_lo
	s_delay_alu instid0(VALU_DEP_1) | instskip(NEXT) | instid1(VALU_DEP_1)
	v_dual_add_f32 v41, v11, v0 :: v_dual_mov_b32 v0, v4
	v_mov_b32_e32 v2, v41
	v_cmpx_ngt_f32_e32 v41, v4
	s_cbranch_execz .LBB13_93
; %bb.90:
	s_mov_b32 s3, exec_lo
	v_cmpx_gt_f32_e32 v41, v1
; %bb.91:
	v_mov_b32_e32 v1, v41
; %bb.92:
	s_or_b32 exec_lo, exec_lo, s3
	s_delay_alu instid0(VALU_DEP_1)
	v_mov_b32_e32 v0, v1
	v_mov_b32_e32 v2, v4
.LBB13_93:
	s_or_b32 exec_lo, exec_lo, s2
	v_cmp_lt_i64_e64 s2, s[26:27], 8
	v_lshlrev_b32_e32 v42, 4, v18
	s_delay_alu instid0(VALU_DEP_2)
	s_and_b32 vcc_lo, exec_lo, s2
	s_cbranch_vccz .LBB13_96
; %bb.94:
	v_add_f32_e32 v0, v0, v2
	s_sub_u32 s4, 8, s26
	s_subb_u32 s5, 0, s27
	s_mov_b64 s[6:7], 0
.LBB13_95:                              ; =>This Inner Loop Header: Depth=1
	s_delay_alu instid0(VALU_DEP_1) | instskip(SKIP_1) | instid1(VALU_DEP_2)
	v_mov_b32_dpp v1, v0 quad_perm:[1,0,3,2] row_mask:0xf bank_mask:0xf
	v_mov_b32_dpp v2, v42 quad_perm:[1,0,3,2] row_mask:0xf bank_mask:0xf
	v_cmp_eq_f32_e32 vcc_lo, v0, v1
	s_delay_alu instid0(VALU_DEP_2) | instskip(SKIP_1) | instid1(VALU_DEP_2)
	v_cmp_lt_i32_e64 s2, v42, v2
	v_cmp_lt_f32_e64 s3, v0, v1
	s_and_b32 s2, s2, vcc_lo
	s_delay_alu instid0(VALU_DEP_1) | instid1(SALU_CYCLE_1)
	s_or_b32 vcc_lo, s3, s2
	v_dual_cndmask_b32 v1, v1, v0 :: v_dual_cndmask_b32 v2, v2, v42
	s_delay_alu instid0(VALU_DEP_1) | instskip(NEXT) | instid1(VALU_DEP_2)
	v_mov_b32_dpp v3, v1 quad_perm:[2,3,0,1] row_mask:0xf bank_mask:0xf
	v_mov_b32_dpp v4, v2 quad_perm:[2,3,0,1] row_mask:0xf bank_mask:0xf
	s_delay_alu instid0(VALU_DEP_2) | instskip(NEXT) | instid1(VALU_DEP_2)
	v_cmp_eq_f32_e32 vcc_lo, v1, v3
	v_cmp_lt_i32_e64 s2, v2, v4
	s_delay_alu instid0(VALU_DEP_1) | instskip(SKIP_2) | instid1(VALU_DEP_2)
	s_and_b32 vcc_lo, vcc_lo, s2
	v_cmp_lt_f32_e64 s2, v1, v3
	v_cndmask_b32_e32 v5, v3, v1, vcc_lo
	s_or_b32 vcc_lo, s2, vcc_lo
	s_add_u32 s6, s6, 1
	v_cndmask_b32_e32 v2, v4, v2, vcc_lo
	s_delay_alu instid0(VALU_DEP_2) | instskip(SKIP_1) | instid1(SALU_CYCLE_1)
	v_cndmask_b32_e64 v1, v5, v1, s2
	s_addc_u32 s7, s7, 0
	v_cmp_le_i64_e64 s2, s[4:5], s[6:7]
	s_delay_alu instid0(VALU_DEP_3) | instskip(NEXT) | instid1(VALU_DEP_3)
	v_mov_b32_dpp v3, v2 row_half_mirror row_mask:0xf bank_mask:0xf
	v_mov_b32_dpp v4, v1 row_half_mirror row_mask:0xf bank_mask:0xf
	s_delay_alu instid0(VALU_DEP_2) | instskip(NEXT) | instid1(VALU_DEP_2)
	v_min_i32_e32 v5, v2, v3
	v_cmp_eq_f32_e32 vcc_lo, v1, v4
	s_delay_alu instid0(VALU_DEP_2) | instskip(SKIP_1) | instid1(VALU_DEP_2)
	v_cndmask_b32_e32 v3, v3, v5, vcc_lo
	v_cmp_lt_f32_e32 vcc_lo, v1, v4
	v_cndmask_b32_e32 v1, v3, v2, vcc_lo
	s_delay_alu instid0(VALU_DEP_1) | instskip(NEXT) | instid1(VALU_DEP_1)
	v_ashrrev_i32_e32 v2, 31, v1
	v_lshrrev_b32_e32 v2, 28, v2
	s_delay_alu instid0(VALU_DEP_1) | instskip(NEXT) | instid1(VALU_DEP_1)
	v_add_nc_u32_e32 v1, v1, v2
	v_ashrrev_i32_e32 v1, 4, v1
	s_delay_alu instid0(VALU_DEP_1)
	v_cmp_eq_u32_e32 vcc_lo, v18, v1
	v_cndmask_b32_e64 v28, v28, 0x7f7fffff, vcc_lo
	v_cndmask_b32_e64 v0, v0, 0x7f7fffff, vcc_lo
	s_and_b32 vcc_lo, exec_lo, s2
	s_cbranch_vccz .LBB13_95
.LBB13_96:
	s_sub_u32 s18, s28, s30
	s_subb_u32 s19, s29, s31
	s_mov_b64 s[2:3], src_shared_base
	s_cmp_lg_u32 0, -1
	v_lshlrev_b32_e32 v4, 2, v23
	s_cselect_b32 s2, s3, 0
	s_cselect_b32 s3, 0, 0
	s_load_b32 s26, s[0:1], 0x48
	s_add_u32 s4, s3, 0xff
	s_addc_u32 s3, s2, 0
	s_and_b32 s2, s4, 0xffffff00
	s_delay_alu instid0(SALU_CYCLE_1) | instskip(SKIP_1) | instid1(VALU_DEP_1)
	v_mad_u64_u32 v[0:1], null, v4, s28, s[2:3]
	v_cmp_lt_i64_e64 s2, s[18:19], 1
	s_and_b32 vcc_lo, exec_lo, s2
	s_delay_alu instid0(VALU_DEP_2) | instskip(SKIP_1) | instid1(VALU_DEP_2)
	v_mad_u64_u32 v[2:3], null, v4, s29, v[1:2]
	v_cmp_eq_u32_e64 s2, 0, v18
	v_mov_b32_e32 v1, v2
	s_cbranch_vccnz .LBB13_107
; %bb.97:
	s_waitcnt lgkmcnt(0)
	v_mad_u64_u32 v[2:3], null, s26, v16, 0
	s_ashr_i32 s3, s26, 31
	v_mul_u32_u24_e32 v43, 16, v18
	v_mov_b32_e32 v23, 0
	s_mov_b64 s[24:25], 0
	s_delay_alu instid0(VALU_DEP_3) | instskip(NEXT) | instid1(VALU_DEP_1)
	v_mad_u64_u32 v[4:5], null, s3, v16, v[3:4]
	v_mov_b32_e32 v3, v4
	v_dual_mov_b32 v5, v1 :: v_dual_mov_b32 v4, v0
	s_delay_alu instid0(VALU_DEP_2) | instskip(NEXT) | instid1(VALU_DEP_1)
	v_lshlrev_b64 v[2:3], 2, v[2:3]
	v_add_co_u32 v2, vcc_lo, s22, v2
	s_delay_alu instid0(VALU_DEP_2)
	v_add_co_ci_u32_e32 v3, vcc_lo, s23, v3, vcc_lo
	s_branch .LBB13_99
.LBB13_98:                              ;   in Loop: Header=BB13_99 Depth=1
	s_or_b32 exec_lo, exec_lo, s3
	s_add_u32 s24, s24, 1
	s_addc_u32 s25, s25, 0
	v_add_co_u32 v2, vcc_lo, v2, 4
	v_cmp_le_i64_e64 s3, s[18:19], s[24:25]
	v_add_co_ci_u32_e32 v3, vcc_lo, 0, v3, vcc_lo
	v_add_co_u32 v4, vcc_lo, v4, 4
	v_add_co_ci_u32_e32 v5, vcc_lo, 0, v5, vcc_lo
	s_delay_alu instid0(VALU_DEP_4)
	s_and_b32 vcc_lo, exec_lo, s3
	s_cbranch_vccnz .LBB13_108
.LBB13_99:                              ; =>This Inner Loop Header: Depth=1
	v_dual_mov_b32 v44, 0xff7fffff :: v_dual_mov_b32 v45, v42
	s_mov_b32 s3, exec_lo
	v_cmpx_neq_f32_e32 0x7f7fffff, v28
	s_cbranch_execz .LBB13_101
; %bb.100:                              ;   in Loop: Header=BB13_99 Depth=1
	v_cmp_gt_f32_e32 vcc_lo, v29, v28
	v_cndmask_b32_e32 v44, v28, v29, vcc_lo
	v_cndmask_b32_e64 v45, 0, 1, vcc_lo
	s_delay_alu instid0(VALU_DEP_2) | instskip(SKIP_1) | instid1(VALU_DEP_3)
	v_cmp_gt_f32_e32 vcc_lo, v30, v44
	v_cndmask_b32_e32 v44, v44, v30, vcc_lo
	v_cndmask_b32_e64 v45, v45, 2, vcc_lo
	s_delay_alu instid0(VALU_DEP_2) | instskip(SKIP_1) | instid1(VALU_DEP_3)
	;; [unrolled: 4-line block ×13, first 2 shown]
	v_cmp_gt_f32_e32 vcc_lo, v40, v44
	v_cndmask_b32_e32 v44, v44, v40, vcc_lo
	v_cndmask_b32_e64 v45, v45, 14, vcc_lo
	s_delay_alu instid0(VALU_DEP_2) | instskip(NEXT) | instid1(VALU_DEP_2)
	v_cmp_gt_f32_e32 vcc_lo, v41, v44
	v_cndmask_b32_e64 v45, v45, 15, vcc_lo
	v_cndmask_b32_e32 v44, v44, v41, vcc_lo
	s_delay_alu instid0(VALU_DEP_2)
	v_or_b32_e32 v45, v45, v42
.LBB13_101:                             ;   in Loop: Header=BB13_99 Depth=1
	s_or_b32 exec_lo, exec_lo, s3
	s_delay_alu instid0(VALU_DEP_2) | instskip(NEXT) | instid1(VALU_DEP_2)
	v_mov_b32_dpp v46, v44 quad_perm:[1,0,3,2] row_mask:0xf bank_mask:0xf
	v_mov_b32_dpp v47, v45 quad_perm:[1,0,3,2] row_mask:0xf bank_mask:0xf
	s_mov_b32 s27, exec_lo
	s_delay_alu instid0(VALU_DEP_2) | instskip(NEXT) | instid1(VALU_DEP_2)
	v_cmp_eq_f32_e32 vcc_lo, v44, v46
	v_cmp_lt_i32_e64 s3, v45, v47
	v_cmp_gt_f32_e64 s4, v44, v46
	s_delay_alu instid0(VALU_DEP_2)
	s_and_b32 s3, vcc_lo, s3
	s_delay_alu instid0(VALU_DEP_1) | instid1(SALU_CYCLE_1)
	s_or_b32 vcc_lo, s4, s3
	v_dual_cndmask_b32 v44, v46, v44 :: v_dual_cndmask_b32 v45, v47, v45
	s_delay_alu instid0(VALU_DEP_1) | instskip(NEXT) | instid1(VALU_DEP_2)
	v_mov_b32_dpp v46, v44 quad_perm:[2,3,0,1] row_mask:0xf bank_mask:0xf
	v_mov_b32_dpp v47, v45 quad_perm:[2,3,0,1] row_mask:0xf bank_mask:0xf
	s_delay_alu instid0(VALU_DEP_2) | instskip(NEXT) | instid1(VALU_DEP_2)
	v_cmp_eq_f32_e32 vcc_lo, v44, v46
	v_cmp_lt_i32_e64 s3, v45, v47
	s_delay_alu instid0(VALU_DEP_1) | instskip(SKIP_2) | instid1(VALU_DEP_2)
	s_and_b32 vcc_lo, vcc_lo, s3
	v_cmp_gt_f32_e64 s3, v44, v46
	v_cndmask_b32_e32 v48, v46, v44, vcc_lo
	s_or_b32 vcc_lo, s3, vcc_lo
	v_cndmask_b32_e32 v45, v47, v45, vcc_lo
	s_delay_alu instid0(VALU_DEP_2) | instskip(NEXT) | instid1(VALU_DEP_2)
	v_cndmask_b32_e64 v44, v48, v44, s3
	v_mov_b32_dpp v46, v45 row_half_mirror row_mask:0xf bank_mask:0xf
	s_delay_alu instid0(VALU_DEP_2) | instskip(NEXT) | instid1(VALU_DEP_2)
	v_mov_b32_dpp v47, v44 row_half_mirror row_mask:0xf bank_mask:0xf
	v_min_i32_e32 v48, v45, v46
	s_delay_alu instid0(VALU_DEP_2) | instskip(NEXT) | instid1(VALU_DEP_2)
	v_cmp_eq_f32_e32 vcc_lo, v44, v47
	v_cndmask_b32_e32 v46, v46, v48, vcc_lo
	v_cmp_gt_f32_e32 vcc_lo, v44, v47
	s_delay_alu instid0(VALU_DEP_2) | instskip(NEXT) | instid1(VALU_DEP_1)
	v_cndmask_b32_e32 v44, v46, v45, vcc_lo
	v_ashrrev_i32_e32 v45, 31, v44
	s_delay_alu instid0(VALU_DEP_1) | instskip(NEXT) | instid1(VALU_DEP_1)
	v_lshrrev_b32_e32 v45, 28, v45
	v_add_nc_u32_e32 v45, v44, v45
	s_delay_alu instid0(VALU_DEP_1) | instskip(NEXT) | instid1(VALU_DEP_1)
	v_ashrrev_i32_e32 v45, 4, v45
	v_cmpx_eq_u32_e64 v18, v45
	s_cbranch_execz .LBB13_105
; %bb.102:                              ;   in Loop: Header=BB13_99 Depth=1
	v_sub_nc_u32_e32 v45, v44, v43
	s_mov_b32 s33, exec_lo
	s_delay_alu instid0(VALU_DEP_1)
	v_cmp_eq_u32_e32 vcc_lo, 1, v45
	v_cmp_eq_u32_e64 s3, 2, v45
	v_cmp_eq_u32_e64 s4, 3, v45
	;; [unrolled: 1-line block ×14, first 2 shown]
	v_cmpx_gt_u32_e32 16, v45
	s_cbranch_execz .LBB13_104
; %bb.103:                              ;   in Loop: Header=BB13_99 Depth=1
	v_cndmask_b32_e32 v46, v19, v20, vcc_lo
	s_delay_alu instid0(VALU_DEP_1) | instskip(NEXT) | instid1(VALU_DEP_1)
	v_cndmask_b32_e64 v46, v46, v12, s3
	v_cndmask_b32_e64 v46, v46, v21, s4
	s_delay_alu instid0(VALU_DEP_1) | instskip(NEXT) | instid1(VALU_DEP_1)
	v_cndmask_b32_e64 v46, v46, v13, s5
	v_cndmask_b32_e64 v46, v46, v22, s6
	;; [unrolled: 3-line block ×7, first 2 shown]
	flat_store_b32 v[4:5], v46
.LBB13_104:                             ;   in Loop: Header=BB13_99 Depth=1
	s_or_b32 exec_lo, exec_lo, s33
	v_cmp_ne_u32_e64 s17, 0, v45
	v_cndmask_b32_e64 v29, v29, 0xff7fffff, vcc_lo
	v_cndmask_b32_e64 v30, v30, 0xff7fffff, s3
	v_cndmask_b32_e64 v31, v31, 0xff7fffff, s4
	;; [unrolled: 1-line block ×15, first 2 shown]
	global_store_b32 v[2:3], v44, off
.LBB13_105:                             ;   in Loop: Header=BB13_99 Depth=1
	s_or_b32 exec_lo, exec_lo, s27
	s_waitcnt lgkmcnt(0)
	s_waitcnt_vscnt null, 0x0
	s_barrier
	buffer_gl0_inv
	s_and_saveexec_b32 s3, s2
	s_cbranch_execz .LBB13_98
; %bb.106:                              ;   in Loop: Header=BB13_99 Depth=1
	flat_load_b32 v44, v[4:5]
	s_waitcnt vmcnt(0) lgkmcnt(0)
	v_add_f32_e32 v23, v23, v44
	s_branch .LBB13_98
.LBB13_107:
	v_mov_b32_e32 v23, 0
.LBB13_108:
	v_cmp_gt_i64_e64 s3, s[30:31], 0
	v_cmp_eq_u32_e64 s2, 0, v18
	s_delay_alu instid0(VALU_DEP_1) | instskip(NEXT) | instid1(SALU_CYCLE_1)
	s_and_b32 s4, s2, s3
	s_and_saveexec_b32 s3, s4
	s_cbranch_execz .LBB13_114
; %bb.109:
	v_dual_mov_b32 v2, v16 :: v_dual_mov_b32 v3, v17
	s_mov_b32 s4, exec_lo
	v_cmpx_le_u64_e64 s[30:31], v[16:17]
	s_cbranch_execz .LBB13_111
; %bb.110:
	v_cvt_f32_u32_e32 v2, s30
	s_sub_i32 s5, 0, s30
	s_delay_alu instid0(VALU_DEP_1) | instskip(SKIP_2) | instid1(VALU_DEP_1)
	v_rcp_iflag_f32_e32 v2, v2
	s_waitcnt_depctr 0xfff
	v_mul_f32_e32 v2, 0x4f7ffffe, v2
	v_cvt_u32_f32_e32 v2, v2
	s_delay_alu instid0(VALU_DEP_1) | instskip(NEXT) | instid1(VALU_DEP_1)
	v_mul_lo_u32 v3, s5, v2
	v_mul_hi_u32 v3, v2, v3
	s_delay_alu instid0(VALU_DEP_1) | instskip(NEXT) | instid1(VALU_DEP_1)
	v_add_nc_u32_e32 v2, v2, v3
	v_mul_hi_u32 v2, v16, v2
	s_delay_alu instid0(VALU_DEP_1) | instskip(NEXT) | instid1(VALU_DEP_1)
	v_mul_lo_u32 v2, v2, s30
	v_sub_nc_u32_e32 v2, v16, v2
	s_delay_alu instid0(VALU_DEP_1) | instskip(SKIP_1) | instid1(VALU_DEP_2)
	v_subrev_nc_u32_e32 v3, s30, v2
	v_cmp_le_u32_e32 vcc_lo, s30, v2
	v_cndmask_b32_e32 v2, v2, v3, vcc_lo
	s_delay_alu instid0(VALU_DEP_1) | instskip(SKIP_1) | instid1(VALU_DEP_2)
	v_subrev_nc_u32_e32 v3, s30, v2
	v_cmp_le_u32_e32 vcc_lo, s30, v2
	v_dual_cndmask_b32 v2, v2, v3 :: v_dual_mov_b32 v3, 0
.LBB13_111:
	s_or_b32 exec_lo, exec_lo, s4
	v_cvt_f64_f32_e32 v[4:5], v23
	s_load_b64 s[0:1], s[0:1], 0x40
	s_waitcnt lgkmcnt(0)
	s_delay_alu instid0(VALU_DEP_1) | instskip(SKIP_1) | instid1(VALU_DEP_2)
	v_div_scale_f64 v[6:7], null, s[0:1], s[0:1], v[4:5]
	v_div_scale_f64 v[12:13], vcc_lo, v[4:5], s[0:1], v[4:5]
	v_rcp_f64_e32 v[8:9], v[6:7]
	s_waitcnt_depctr 0xfff
	v_fma_f64 v[10:11], -v[6:7], v[8:9], 1.0
	s_delay_alu instid0(VALU_DEP_1) | instskip(NEXT) | instid1(VALU_DEP_1)
	v_fma_f64 v[8:9], v[8:9], v[10:11], v[8:9]
	v_fma_f64 v[10:11], -v[6:7], v[8:9], 1.0
	s_delay_alu instid0(VALU_DEP_1) | instskip(NEXT) | instid1(VALU_DEP_1)
	v_fma_f64 v[8:9], v[8:9], v[10:11], v[8:9]
	v_mul_f64 v[10:11], v[12:13], v[8:9]
	s_delay_alu instid0(VALU_DEP_1) | instskip(NEXT) | instid1(VALU_DEP_1)
	v_fma_f64 v[6:7], -v[6:7], v[10:11], v[12:13]
	v_div_fmas_f64 v[6:7], v[6:7], v[8:9], v[10:11]
	v_add_nc_u32_e32 v11, 0x80, v2
	s_delay_alu instid0(VALU_DEP_2) | instskip(SKIP_2) | instid1(VALU_DEP_2)
	v_div_fixup_f64 v[4:5], v[6:7], s[0:1], v[4:5]
	v_mad_u64_u32 v[6:7], null, s26, v16, s[18:19]
	s_ashr_i32 s0, s26, 31
	v_cvt_f32_f64_e32 v8, v[4:5]
	s_delay_alu instid0(VALU_DEP_2) | instskip(NEXT) | instid1(VALU_DEP_1)
	v_mov_b32_e32 v4, v7
	v_mad_u64_u32 v[9:10], null, s0, v16, v[4:5]
	v_cmp_lt_u64_e64 s0, s[30:31], 2
	s_delay_alu instid0(VALU_DEP_2) | instskip(NEXT) | instid1(VALU_DEP_1)
	v_mov_b32_e32 v7, v9
	v_lshlrev_b64 v[4:5], 2, v[6:7]
	s_delay_alu instid0(VALU_DEP_1) | instskip(NEXT) | instid1(VALU_DEP_2)
	v_add_co_u32 v6, vcc_lo, s22, v4
	v_add_co_ci_u32_e32 v7, vcc_lo, s23, v5, vcc_lo
	v_add_co_u32 v9, vcc_lo, s20, v4
	v_add_co_ci_u32_e32 v10, vcc_lo, s21, v5, vcc_lo
	s_and_b32 vcc_lo, exec_lo, s0
	global_store_b32 v[6:7], v11, off
	global_store_b32 v[9:10], v8, off
	s_cbranch_vccnz .LBB13_114
; %bb.112:
	v_add_co_u32 v6, vcc_lo, v4, 4
	v_add_co_ci_u32_e32 v7, vcc_lo, 0, v5, vcc_lo
	s_mov_b64 s[0:1], 1
	s_delay_alu instid0(VALU_DEP_2) | instskip(NEXT) | instid1(VALU_DEP_2)
	v_add_co_u32 v4, vcc_lo, s20, v6
	v_add_co_ci_u32_e32 v5, vcc_lo, s21, v7, vcc_lo
	v_add_co_u32 v6, vcc_lo, s22, v6
	v_add_co_ci_u32_e32 v7, vcc_lo, s23, v7, vcc_lo
	.p2align	6
.LBB13_113:                             ; =>This Inner Loop Header: Depth=1
	s_delay_alu instid0(VALU_DEP_2)
	v_add_co_u32 v9, vcc_lo, v2, 1
	v_add_co_ci_u32_e32 v10, vcc_lo, 0, v3, vcc_lo
	v_add_nc_u32_e32 v2, 0x81, v2
	s_add_u32 s0, s0, 1
	global_store_b32 v[4:5], v8, off
	v_add_co_u32 v4, vcc_lo, v4, 4
	s_addc_u32 s1, s1, 0
	v_add_co_ci_u32_e32 v5, vcc_lo, 0, v5, vcc_lo
	v_cmp_lt_u64_e64 s4, s[0:1], s[30:31]
	global_store_b32 v[6:7], v2, off
	v_add_co_u32 v6, vcc_lo, v6, 4
	v_dual_mov_b32 v2, v9 :: v_dual_mov_b32 v3, v10
	v_add_co_ci_u32_e32 v7, vcc_lo, 0, v7, vcc_lo
	s_and_b32 vcc_lo, exec_lo, s4
	s_cbranch_vccnz .LBB13_113
.LBB13_114:
	s_or_b32 exec_lo, exec_lo, s3
	v_cmp_gt_i64_e64 s3, s[28:29], 0
	s_mov_b64 s[0:1], 0
	s_waitcnt lgkmcnt(0)
	s_waitcnt_vscnt null, 0x0
	s_barrier
	buffer_gl0_inv
	s_and_b32 s2, s2, s3
	s_delay_alu instid0(SALU_CYCLE_1)
	s_and_b32 exec_lo, exec_lo, s2
	s_cbranch_execz .LBB13_121
; %bb.115:
	v_mad_u64_u32 v[2:3], null, s26, v16, 0
	s_ashr_i32 s2, s26, 31
	s_delay_alu instid0(VALU_DEP_1) | instid1(SALU_CYCLE_1)
	v_mad_u64_u32 v[4:5], null, s2, v16, v[3:4]
	v_cmp_lt_u64_e64 s2, s[28:29], 8
	s_delay_alu instid0(VALU_DEP_2) | instskip(NEXT) | instid1(VALU_DEP_1)
	v_mov_b32_e32 v3, v4
	v_lshlrev_b64 v[2:3], 2, v[2:3]
	s_delay_alu instid0(VALU_DEP_1) | instskip(NEXT) | instid1(VALU_DEP_2)
	v_add_co_u32 v2, vcc_lo, s20, v2
	v_add_co_ci_u32_e32 v3, vcc_lo, s21, v3, vcc_lo
	s_and_b32 vcc_lo, exec_lo, s2
	s_cbranch_vccnz .LBB13_118
; %bb.116:
	s_and_b32 s1, s29, 0x7fffffff
	s_and_b32 s0, s28, -8
	s_mov_b64 s[2:3], 0
	s_mov_b64 s[4:5], s[0:1]
.LBB13_117:                             ; =>This Inner Loop Header: Depth=1
	v_add_co_u32 v4, vcc_lo, v0, s2
	v_add_co_ci_u32_e32 v5, vcc_lo, s3, v1, vcc_lo
	flat_load_b32 v8, v[4:5]
	s_waitcnt vmcnt(0) lgkmcnt(0)
	v_div_scale_f32 v6, null, v23, v23, v8
	v_div_scale_f32 v10, vcc_lo, v8, v23, v8
	s_delay_alu instid0(VALU_DEP_2) | instskip(SKIP_2) | instid1(VALU_DEP_1)
	v_rcp_f32_e32 v7, v6
	s_waitcnt_depctr 0xfff
	v_fma_f32 v9, -v6, v7, 1.0
	v_fmac_f32_e32 v7, v9, v7
	s_delay_alu instid0(VALU_DEP_1) | instskip(NEXT) | instid1(VALU_DEP_1)
	v_mul_f32_e32 v9, v10, v7
	v_fma_f32 v11, -v6, v9, v10
	s_delay_alu instid0(VALU_DEP_1) | instskip(NEXT) | instid1(VALU_DEP_1)
	v_fmac_f32_e32 v9, v11, v7
	v_fma_f32 v6, -v6, v9, v10
	s_delay_alu instid0(VALU_DEP_1) | instskip(SKIP_2) | instid1(VALU_DEP_3)
	v_div_fmas_f32 v9, v6, v7, v9
	v_add_co_u32 v6, vcc_lo, v2, s2
	v_add_co_ci_u32_e32 v7, vcc_lo, s3, v3, vcc_lo
	v_div_fixup_f32 v8, v9, v23, v8
	s_add_u32 s2, s2, 32
	s_addc_u32 s3, s3, 0
	s_add_u32 s4, s4, -8
	s_addc_u32 s5, s5, -1
	global_store_b32 v[6:7], v8, off
	flat_load_b32 v8, v[4:5] offset:4
	s_cmp_lg_u64 s[4:5], 0
	s_waitcnt vmcnt(0) lgkmcnt(0)
	v_div_scale_f32 v9, null, v23, v23, v8
	v_div_scale_f32 v12, vcc_lo, v8, v23, v8
	s_delay_alu instid0(VALU_DEP_2) | instskip(SKIP_2) | instid1(VALU_DEP_1)
	v_rcp_f32_e32 v10, v9
	s_waitcnt_depctr 0xfff
	v_fma_f32 v11, -v9, v10, 1.0
	v_fmac_f32_e32 v10, v11, v10
	s_delay_alu instid0(VALU_DEP_1) | instskip(NEXT) | instid1(VALU_DEP_1)
	v_mul_f32_e32 v11, v12, v10
	v_fma_f32 v13, -v9, v11, v12
	s_delay_alu instid0(VALU_DEP_1) | instskip(NEXT) | instid1(VALU_DEP_1)
	v_fmac_f32_e32 v11, v13, v10
	v_fma_f32 v9, -v9, v11, v12
	s_delay_alu instid0(VALU_DEP_1) | instskip(NEXT) | instid1(VALU_DEP_1)
	v_div_fmas_f32 v9, v9, v10, v11
	v_div_fixup_f32 v8, v9, v23, v8
	global_store_b32 v[6:7], v8, off offset:4
	flat_load_b32 v8, v[4:5] offset:8
	s_waitcnt vmcnt(0) lgkmcnt(0)
	v_div_scale_f32 v9, null, v23, v23, v8
	v_div_scale_f32 v12, vcc_lo, v8, v23, v8
	s_delay_alu instid0(VALU_DEP_2) | instskip(SKIP_2) | instid1(VALU_DEP_1)
	v_rcp_f32_e32 v10, v9
	s_waitcnt_depctr 0xfff
	v_fma_f32 v11, -v9, v10, 1.0
	v_fmac_f32_e32 v10, v11, v10
	s_delay_alu instid0(VALU_DEP_1) | instskip(NEXT) | instid1(VALU_DEP_1)
	v_mul_f32_e32 v11, v12, v10
	v_fma_f32 v13, -v9, v11, v12
	s_delay_alu instid0(VALU_DEP_1) | instskip(NEXT) | instid1(VALU_DEP_1)
	v_fmac_f32_e32 v11, v13, v10
	v_fma_f32 v9, -v9, v11, v12
	s_delay_alu instid0(VALU_DEP_1) | instskip(NEXT) | instid1(VALU_DEP_1)
	v_div_fmas_f32 v9, v9, v10, v11
	v_div_fixup_f32 v8, v9, v23, v8
	global_store_b32 v[6:7], v8, off offset:8
	flat_load_b32 v8, v[4:5] offset:12
	;; [unrolled: 19-line block ×6, first 2 shown]
	s_waitcnt vmcnt(0) lgkmcnt(0)
	v_div_scale_f32 v5, null, v23, v23, v4
	v_div_scale_f32 v10, vcc_lo, v4, v23, v4
	s_delay_alu instid0(VALU_DEP_2) | instskip(SKIP_2) | instid1(VALU_DEP_1)
	v_rcp_f32_e32 v8, v5
	s_waitcnt_depctr 0xfff
	v_fma_f32 v9, -v5, v8, 1.0
	v_fmac_f32_e32 v8, v9, v8
	s_delay_alu instid0(VALU_DEP_1) | instskip(NEXT) | instid1(VALU_DEP_1)
	v_mul_f32_e32 v9, v10, v8
	v_fma_f32 v11, -v5, v9, v10
	s_delay_alu instid0(VALU_DEP_1) | instskip(NEXT) | instid1(VALU_DEP_1)
	v_fmac_f32_e32 v9, v11, v8
	v_fma_f32 v5, -v5, v9, v10
	s_delay_alu instid0(VALU_DEP_1) | instskip(NEXT) | instid1(VALU_DEP_1)
	v_div_fmas_f32 v5, v5, v8, v9
	v_div_fixup_f32 v4, v5, v23, v4
	global_store_b32 v[6:7], v4, off offset:28
	s_cbranch_scc1 .LBB13_117
.LBB13_118:
	s_and_b32 s2, s28, 7
	s_mov_b32 s3, 0
	s_delay_alu instid0(SALU_CYCLE_1)
	s_cmp_eq_u64 s[2:3], 0
	s_cbranch_scc1 .LBB13_121
; %bb.119:
	s_mov_b64 s[4:5], s[2:3]
	s_set_inst_prefetch_distance 0x1
	.p2align	6
.LBB13_120:                             ; =>This Inner Loop Header: Depth=1
	s_lshl_b64 s[6:7], s[0:1], 2
	s_add_i32 s2, s0, 1
	v_add_co_u32 v4, vcc_lo, v0, s6
	v_add_co_ci_u32_e32 v5, vcc_lo, s7, v1, vcc_lo
	s_add_u32 s4, s4, -1
	s_addc_u32 s5, s5, -1
	s_mov_b64 s[0:1], s[2:3]
	flat_load_b32 v6, v[4:5]
	s_cmp_lg_u64 s[4:5], 0
	s_waitcnt vmcnt(0) lgkmcnt(0)
	v_div_scale_f32 v4, null, v23, v23, v6
	v_div_scale_f32 v8, vcc_lo, v6, v23, v6
	s_delay_alu instid0(VALU_DEP_2) | instskip(SKIP_2) | instid1(VALU_DEP_1)
	v_rcp_f32_e32 v5, v4
	s_waitcnt_depctr 0xfff
	v_fma_f32 v7, -v4, v5, 1.0
	v_fmac_f32_e32 v5, v7, v5
	s_delay_alu instid0(VALU_DEP_1) | instskip(NEXT) | instid1(VALU_DEP_1)
	v_mul_f32_e32 v7, v8, v5
	v_fma_f32 v9, -v4, v7, v8
	s_delay_alu instid0(VALU_DEP_1) | instskip(NEXT) | instid1(VALU_DEP_1)
	v_fmac_f32_e32 v7, v9, v5
	v_fma_f32 v4, -v4, v7, v8
	s_delay_alu instid0(VALU_DEP_1) | instskip(SKIP_2) | instid1(VALU_DEP_3)
	v_div_fmas_f32 v7, v4, v5, v7
	v_add_co_u32 v4, vcc_lo, v2, s6
	v_add_co_ci_u32_e32 v5, vcc_lo, s7, v3, vcc_lo
	v_div_fixup_f32 v6, v7, v23, v6
	global_store_b32 v[4:5], v6, off
	s_cbranch_scc1 .LBB13_120
.LBB13_121:
	s_set_inst_prefetch_distance 0x2
	s_nop 0
	s_sendmsg sendmsg(MSG_DEALLOC_VGPRS)
	s_endpgm
	.section	.rodata,"a",@progbits
	.p2align	6, 0x0
	.amdhsa_kernel _Z21moe_fused_gate_kernelItLi16ELi128ELi8ELi1EEvPvS0_PfPilllldi
		.amdhsa_group_segment_fixed_size 0
		.amdhsa_private_segment_fixed_size 0
		.amdhsa_kernarg_size 76
		.amdhsa_user_sgpr_count 15
		.amdhsa_user_sgpr_dispatch_ptr 0
		.amdhsa_user_sgpr_queue_ptr 0
		.amdhsa_user_sgpr_kernarg_segment_ptr 1
		.amdhsa_user_sgpr_dispatch_id 0
		.amdhsa_user_sgpr_private_segment_size 0
		.amdhsa_wavefront_size32 1
		.amdhsa_uses_dynamic_stack 0
		.amdhsa_enable_private_segment 0
		.amdhsa_system_sgpr_workgroup_id_x 1
		.amdhsa_system_sgpr_workgroup_id_y 0
		.amdhsa_system_sgpr_workgroup_id_z 0
		.amdhsa_system_sgpr_workgroup_info 0
		.amdhsa_system_vgpr_workitem_id 1
		.amdhsa_next_free_vgpr 49
		.amdhsa_next_free_sgpr 34
		.amdhsa_reserve_vcc 1
		.amdhsa_float_round_mode_32 0
		.amdhsa_float_round_mode_16_64 0
		.amdhsa_float_denorm_mode_32 3
		.amdhsa_float_denorm_mode_16_64 3
		.amdhsa_dx10_clamp 1
		.amdhsa_ieee_mode 1
		.amdhsa_fp16_overflow 0
		.amdhsa_workgroup_processor_mode 1
		.amdhsa_memory_ordered 1
		.amdhsa_forward_progress 0
		.amdhsa_shared_vgpr_count 0
		.amdhsa_exception_fp_ieee_invalid_op 0
		.amdhsa_exception_fp_denorm_src 0
		.amdhsa_exception_fp_ieee_div_zero 0
		.amdhsa_exception_fp_ieee_overflow 0
		.amdhsa_exception_fp_ieee_underflow 0
		.amdhsa_exception_fp_ieee_inexact 0
		.amdhsa_exception_int_div_zero 0
	.end_amdhsa_kernel
	.section	.text._Z21moe_fused_gate_kernelItLi16ELi128ELi8ELi1EEvPvS0_PfPilllldi,"axG",@progbits,_Z21moe_fused_gate_kernelItLi16ELi128ELi8ELi1EEvPvS0_PfPilllldi,comdat
.Lfunc_end13:
	.size	_Z21moe_fused_gate_kernelItLi16ELi128ELi8ELi1EEvPvS0_PfPilllldi, .Lfunc_end13-_Z21moe_fused_gate_kernelItLi16ELi128ELi8ELi1EEvPvS0_PfPilllldi
                                        ; -- End function
	.section	.AMDGPU.csdata,"",@progbits
; Kernel info:
; codeLenInByte = 8452
; NumSgprs: 36
; NumVgprs: 49
; ScratchSize: 0
; MemoryBound: 0
; FloatMode: 240
; IeeeMode: 1
; LDSByteSize: 0 bytes/workgroup (compile time only)
; SGPRBlocks: 4
; VGPRBlocks: 6
; NumSGPRsForWavesPerEU: 36
; NumVGPRsForWavesPerEU: 49
; Occupancy: 16
; WaveLimiterHint : 0
; COMPUTE_PGM_RSRC2:SCRATCH_EN: 0
; COMPUTE_PGM_RSRC2:USER_SGPR: 15
; COMPUTE_PGM_RSRC2:TRAP_HANDLER: 0
; COMPUTE_PGM_RSRC2:TGID_X_EN: 1
; COMPUTE_PGM_RSRC2:TGID_Y_EN: 0
; COMPUTE_PGM_RSRC2:TGID_Z_EN: 0
; COMPUTE_PGM_RSRC2:TIDIG_COMP_CNT: 1
	.section	.text._Z21moe_fused_gate_kernelIDF16_Li16ELi128ELi8ELi1EEvPvS0_PfPilllldi,"axG",@progbits,_Z21moe_fused_gate_kernelIDF16_Li16ELi128ELi8ELi1EEvPvS0_PfPilllldi,comdat
	.protected	_Z21moe_fused_gate_kernelIDF16_Li16ELi128ELi8ELi1EEvPvS0_PfPilllldi ; -- Begin function _Z21moe_fused_gate_kernelIDF16_Li16ELi128ELi8ELi1EEvPvS0_PfPilllldi
	.globl	_Z21moe_fused_gate_kernelIDF16_Li16ELi128ELi8ELi1EEvPvS0_PfPilllldi
	.p2align	8
	.type	_Z21moe_fused_gate_kernelIDF16_Li16ELi128ELi8ELi1EEvPvS0_PfPilllldi,@function
_Z21moe_fused_gate_kernelIDF16_Li16ELi128ELi8ELi1EEvPvS0_PfPilllldi: ; @_Z21moe_fused_gate_kernelIDF16_Li16ELi128ELi8ELi1EEvPvS0_PfPilllldi
; %bb.0:
	s_load_b512 s[16:31], s[0:1], 0x0
	v_bfe_u32 v1, v0, 10, 10
	v_dual_mov_b32 v19, 0 :: v_dual_and_b32 v0, 0x3ff, v0
	s_mov_b32 s2, exec_lo
	s_delay_alu instid0(VALU_DEP_2) | instskip(NEXT) | instid1(VALU_DEP_2)
	v_add_nc_u32_e32 v1, s15, v1
	v_lshrrev_b32_e32 v23, 3, v0
	s_delay_alu instid0(VALU_DEP_3) | instskip(NEXT) | instid1(VALU_DEP_2)
	v_mov_b32_e32 v17, v19
	v_lshl_add_u32 v16, v1, 2, v23
	s_waitcnt lgkmcnt(0)
	s_delay_alu instid0(VALU_DEP_1)
	v_cmpx_gt_i64_e64 s[24:25], v[16:17]
	s_cbranch_execz .LBB14_121
; %bb.1:
	v_and_b32_e32 v18, 7, v0
	v_lshlrev_b64 v[0:1], 8, v[16:17]
	s_mov_b32 s2, exec_lo
	s_delay_alu instid0(VALU_DEP_2) | instskip(NEXT) | instid1(VALU_DEP_2)
	v_lshlrev_b32_e32 v4, 5, v18
	v_add_co_u32 v0, vcc_lo, s16, v0
	s_delay_alu instid0(VALU_DEP_3) | instskip(NEXT) | instid1(VALU_DEP_2)
	v_add_co_ci_u32_e32 v1, vcc_lo, s17, v1, vcc_lo
	v_add_co_u32 v0, vcc_lo, v0, v4
	s_delay_alu instid0(VALU_DEP_2)
	v_add_co_ci_u32_e32 v1, vcc_lo, 0, v1, vcc_lo
	s_clause 0x1
	global_load_b128 v[12:15], v[0:1], off
	global_load_b128 v[8:11], v[0:1], off offset:16
	s_clause 0x1
	global_load_b128 v[0:3], v4, s[18:19] offset:16
	global_load_b128 v[4:7], v4, s[18:19]
	s_waitcnt vmcnt(3)
	v_cmpx_o_f16_e32 v12, v12
	s_cbranch_execz .LBB14_3
; %bb.2:
	v_cvt_f32_f16_e64 v19, -v12
	s_mov_b32 s3, 0x3fb8aa3b
	s_delay_alu instid0(VALU_DEP_1) | instskip(SKIP_1) | instid1(VALU_DEP_2)
	v_mul_f32_e32 v20, 0x3fb8aa3b, v19
	v_cmp_ngt_f32_e32 vcc_lo, 0xc2ce8ed0, v19
	v_rndne_f32_e32 v21, v20
	v_fma_mix_f32 v22, -v12, s3, -v20 op_sel_hi:[1,0,0]
	s_mov_b32 s3, 0x32a5705f
	s_delay_alu instid0(VALU_DEP_2) | instskip(NEXT) | instid1(VALU_DEP_2)
	v_sub_f32_e32 v20, v20, v21
	v_fma_mix_f32 v22, -v12, s3, v22 op_sel_hi:[1,0,0]
	v_cvt_i32_f32_e32 v21, v21
	s_delay_alu instid0(VALU_DEP_2) | instskip(NEXT) | instid1(VALU_DEP_1)
	v_add_f32_e32 v20, v20, v22
	v_exp_f32_e32 v20, v20
	s_waitcnt_depctr 0xfff
	v_ldexp_f32 v20, v20, v21
	s_delay_alu instid0(VALU_DEP_1) | instskip(SKIP_1) | instid1(VALU_DEP_2)
	v_cndmask_b32_e32 v20, 0, v20, vcc_lo
	v_cmp_nlt_f32_e32 vcc_lo, 0x42b17218, v19
	v_cndmask_b32_e32 v19, 0x7f800000, v20, vcc_lo
	s_delay_alu instid0(VALU_DEP_1) | instskip(NEXT) | instid1(VALU_DEP_1)
	v_add_f32_e32 v19, 1.0, v19
	v_div_scale_f32 v20, null, v19, v19, 1.0
	s_delay_alu instid0(VALU_DEP_1) | instskip(SKIP_2) | instid1(VALU_DEP_1)
	v_rcp_f32_e32 v21, v20
	s_waitcnt_depctr 0xfff
	v_fma_f32 v22, -v20, v21, 1.0
	v_fmac_f32_e32 v21, v22, v21
	v_div_scale_f32 v22, vcc_lo, 1.0, v19, 1.0
	s_delay_alu instid0(VALU_DEP_1) | instskip(NEXT) | instid1(VALU_DEP_1)
	v_mul_f32_e32 v24, v22, v21
	v_fma_f32 v25, -v20, v24, v22
	s_delay_alu instid0(VALU_DEP_1) | instskip(NEXT) | instid1(VALU_DEP_1)
	v_fmac_f32_e32 v24, v25, v21
	v_fma_f32 v20, -v20, v24, v22
	s_delay_alu instid0(VALU_DEP_1) | instskip(NEXT) | instid1(VALU_DEP_1)
	v_div_fmas_f32 v20, v20, v21, v24
	v_div_fixup_f32 v19, v20, v19, 1.0
.LBB14_3:
	s_or_b32 exec_lo, exec_lo, s2
	v_lshrrev_b32_e32 v21, 16, v12
	v_mov_b32_e32 v12, 0
	v_mov_b32_e32 v20, 0
	s_mov_b32 s2, exec_lo
	s_delay_alu instid0(VALU_DEP_3)
	v_cmpx_o_f16_e32 v21, v21
	s_cbranch_execz .LBB14_5
; %bb.4:
	v_cvt_f32_f16_e64 v20, -v21
	s_mov_b32 s3, 0x3fb8aa3b
	s_delay_alu instid0(VALU_DEP_1) | instskip(SKIP_1) | instid1(VALU_DEP_1)
	v_cmp_ngt_f32_e32 vcc_lo, 0xc2ce8ed0, v20
	v_mul_f32_e32 v22, 0x3fb8aa3b, v20
	v_rndne_f32_e32 v24, v22
	v_fma_mix_f32 v25, -v21, s3, -v22 op_sel_hi:[1,0,0]
	s_mov_b32 s3, 0x32a5705f
	s_delay_alu instid0(VALU_DEP_2) | instskip(NEXT) | instid1(VALU_DEP_2)
	v_sub_f32_e32 v22, v22, v24
	v_fma_mix_f32 v21, -v21, s3, v25 op_sel_hi:[1,0,0]
	s_delay_alu instid0(VALU_DEP_1) | instskip(SKIP_1) | instid1(VALU_DEP_2)
	v_add_f32_e32 v21, v22, v21
	v_cvt_i32_f32_e32 v22, v24
	v_exp_f32_e32 v21, v21
	s_waitcnt_depctr 0xfff
	v_ldexp_f32 v21, v21, v22
	s_delay_alu instid0(VALU_DEP_1) | instskip(SKIP_1) | instid1(VALU_DEP_2)
	v_cndmask_b32_e32 v21, 0, v21, vcc_lo
	v_cmp_nlt_f32_e32 vcc_lo, 0x42b17218, v20
	v_cndmask_b32_e32 v20, 0x7f800000, v21, vcc_lo
	s_delay_alu instid0(VALU_DEP_1) | instskip(NEXT) | instid1(VALU_DEP_1)
	v_add_f32_e32 v20, 1.0, v20
	v_div_scale_f32 v21, null, v20, v20, 1.0
	s_delay_alu instid0(VALU_DEP_1) | instskip(SKIP_2) | instid1(VALU_DEP_1)
	v_rcp_f32_e32 v22, v21
	s_waitcnt_depctr 0xfff
	v_fma_f32 v24, -v21, v22, 1.0
	v_fmac_f32_e32 v22, v24, v22
	v_div_scale_f32 v24, vcc_lo, 1.0, v20, 1.0
	s_delay_alu instid0(VALU_DEP_1) | instskip(NEXT) | instid1(VALU_DEP_1)
	v_mul_f32_e32 v25, v24, v22
	v_fma_f32 v26, -v21, v25, v24
	s_delay_alu instid0(VALU_DEP_1) | instskip(NEXT) | instid1(VALU_DEP_1)
	v_fmac_f32_e32 v25, v26, v22
	v_fma_f32 v21, -v21, v25, v24
	s_delay_alu instid0(VALU_DEP_1) | instskip(NEXT) | instid1(VALU_DEP_1)
	v_div_fmas_f32 v21, v21, v22, v25
	v_div_fixup_f32 v20, v21, v20, 1.0
.LBB14_5:
	s_or_b32 exec_lo, exec_lo, s2
	s_delay_alu instid0(SALU_CYCLE_1)
	s_mov_b32 s2, exec_lo
	v_cmpx_o_f16_e32 v13, v13
	s_cbranch_execz .LBB14_7
; %bb.6:
	v_cvt_f32_f16_e64 v12, -v13
	s_mov_b32 s3, 0x3fb8aa3b
	s_delay_alu instid0(VALU_DEP_1) | instskip(SKIP_1) | instid1(VALU_DEP_2)
	v_mul_f32_e32 v21, 0x3fb8aa3b, v12
	v_cmp_ngt_f32_e32 vcc_lo, 0xc2ce8ed0, v12
	v_rndne_f32_e32 v22, v21
	v_fma_mix_f32 v24, -v13, s3, -v21 op_sel_hi:[1,0,0]
	s_mov_b32 s3, 0x32a5705f
	s_delay_alu instid0(VALU_DEP_2) | instskip(NEXT) | instid1(VALU_DEP_2)
	v_sub_f32_e32 v21, v21, v22
	v_fma_mix_f32 v24, -v13, s3, v24 op_sel_hi:[1,0,0]
	v_cvt_i32_f32_e32 v22, v22
	s_delay_alu instid0(VALU_DEP_2) | instskip(NEXT) | instid1(VALU_DEP_1)
	v_add_f32_e32 v21, v21, v24
	v_exp_f32_e32 v21, v21
	s_waitcnt_depctr 0xfff
	v_ldexp_f32 v21, v21, v22
	s_delay_alu instid0(VALU_DEP_1) | instskip(SKIP_1) | instid1(VALU_DEP_2)
	v_cndmask_b32_e32 v21, 0, v21, vcc_lo
	v_cmp_nlt_f32_e32 vcc_lo, 0x42b17218, v12
	v_cndmask_b32_e32 v12, 0x7f800000, v21, vcc_lo
	s_delay_alu instid0(VALU_DEP_1) | instskip(NEXT) | instid1(VALU_DEP_1)
	v_add_f32_e32 v12, 1.0, v12
	v_div_scale_f32 v21, null, v12, v12, 1.0
	s_delay_alu instid0(VALU_DEP_1) | instskip(SKIP_2) | instid1(VALU_DEP_1)
	v_rcp_f32_e32 v22, v21
	s_waitcnt_depctr 0xfff
	v_fma_f32 v24, -v21, v22, 1.0
	v_fmac_f32_e32 v22, v24, v22
	v_div_scale_f32 v24, vcc_lo, 1.0, v12, 1.0
	s_delay_alu instid0(VALU_DEP_1) | instskip(NEXT) | instid1(VALU_DEP_1)
	v_mul_f32_e32 v25, v24, v22
	v_fma_f32 v26, -v21, v25, v24
	s_delay_alu instid0(VALU_DEP_1) | instskip(NEXT) | instid1(VALU_DEP_1)
	v_fmac_f32_e32 v25, v26, v22
	v_fma_f32 v21, -v21, v25, v24
	s_delay_alu instid0(VALU_DEP_1) | instskip(NEXT) | instid1(VALU_DEP_1)
	v_div_fmas_f32 v21, v21, v22, v25
	v_div_fixup_f32 v12, v21, v12, 1.0
.LBB14_7:
	s_or_b32 exec_lo, exec_lo, s2
	v_lshrrev_b32_e32 v22, 16, v13
	v_mov_b32_e32 v13, 0
	v_mov_b32_e32 v21, 0
	s_mov_b32 s2, exec_lo
	s_delay_alu instid0(VALU_DEP_3)
	v_cmpx_o_f16_e32 v22, v22
	s_cbranch_execz .LBB14_9
; %bb.8:
	v_cvt_f32_f16_e64 v21, -v22
	s_mov_b32 s3, 0x3fb8aa3b
	s_delay_alu instid0(VALU_DEP_1) | instskip(SKIP_1) | instid1(VALU_DEP_2)
	v_mul_f32_e32 v24, 0x3fb8aa3b, v21
	v_cmp_ngt_f32_e32 vcc_lo, 0xc2ce8ed0, v21
	v_rndne_f32_e32 v25, v24
	v_fma_mix_f32 v26, -v22, s3, -v24 op_sel_hi:[1,0,0]
	s_mov_b32 s3, 0x32a5705f
	s_delay_alu instid0(VALU_DEP_2) | instskip(NEXT) | instid1(VALU_DEP_2)
	v_sub_f32_e32 v24, v24, v25
	v_fma_mix_f32 v22, -v22, s3, v26 op_sel_hi:[1,0,0]
	s_delay_alu instid0(VALU_DEP_1) | instskip(SKIP_1) | instid1(VALU_DEP_2)
	v_add_f32_e32 v22, v24, v22
	v_cvt_i32_f32_e32 v24, v25
	v_exp_f32_e32 v22, v22
	s_waitcnt_depctr 0xfff
	v_ldexp_f32 v22, v22, v24
	s_delay_alu instid0(VALU_DEP_1) | instskip(SKIP_1) | instid1(VALU_DEP_2)
	v_cndmask_b32_e32 v22, 0, v22, vcc_lo
	v_cmp_nlt_f32_e32 vcc_lo, 0x42b17218, v21
	v_cndmask_b32_e32 v21, 0x7f800000, v22, vcc_lo
	s_delay_alu instid0(VALU_DEP_1) | instskip(NEXT) | instid1(VALU_DEP_1)
	v_add_f32_e32 v21, 1.0, v21
	v_div_scale_f32 v22, null, v21, v21, 1.0
	s_delay_alu instid0(VALU_DEP_1) | instskip(SKIP_2) | instid1(VALU_DEP_1)
	v_rcp_f32_e32 v24, v22
	s_waitcnt_depctr 0xfff
	v_fma_f32 v25, -v22, v24, 1.0
	v_fmac_f32_e32 v24, v25, v24
	v_div_scale_f32 v25, vcc_lo, 1.0, v21, 1.0
	s_delay_alu instid0(VALU_DEP_1) | instskip(NEXT) | instid1(VALU_DEP_1)
	v_mul_f32_e32 v26, v25, v24
	v_fma_f32 v27, -v22, v26, v25
	s_delay_alu instid0(VALU_DEP_1) | instskip(NEXT) | instid1(VALU_DEP_1)
	v_fmac_f32_e32 v26, v27, v24
	v_fma_f32 v22, -v22, v26, v25
	s_delay_alu instid0(VALU_DEP_1) | instskip(NEXT) | instid1(VALU_DEP_1)
	v_div_fmas_f32 v22, v22, v24, v26
	v_div_fixup_f32 v21, v22, v21, 1.0
.LBB14_9:
	s_or_b32 exec_lo, exec_lo, s2
	s_delay_alu instid0(SALU_CYCLE_1)
	s_mov_b32 s2, exec_lo
	v_cmpx_o_f16_e32 v14, v14
	s_cbranch_execz .LBB14_11
; %bb.10:
	v_cvt_f32_f16_e64 v13, -v14
	s_mov_b32 s3, 0x3fb8aa3b
	s_delay_alu instid0(VALU_DEP_1) | instskip(SKIP_1) | instid1(VALU_DEP_2)
	v_mul_f32_e32 v22, 0x3fb8aa3b, v13
	v_cmp_ngt_f32_e32 vcc_lo, 0xc2ce8ed0, v13
	v_rndne_f32_e32 v24, v22
	v_fma_mix_f32 v25, -v14, s3, -v22 op_sel_hi:[1,0,0]
	s_mov_b32 s3, 0x32a5705f
	s_delay_alu instid0(VALU_DEP_2) | instskip(NEXT) | instid1(VALU_DEP_2)
	v_sub_f32_e32 v22, v22, v24
	v_fma_mix_f32 v25, -v14, s3, v25 op_sel_hi:[1,0,0]
	v_cvt_i32_f32_e32 v24, v24
	s_delay_alu instid0(VALU_DEP_2) | instskip(NEXT) | instid1(VALU_DEP_1)
	v_add_f32_e32 v22, v22, v25
	v_exp_f32_e32 v22, v22
	s_waitcnt_depctr 0xfff
	v_ldexp_f32 v22, v22, v24
	s_delay_alu instid0(VALU_DEP_1) | instskip(SKIP_1) | instid1(VALU_DEP_2)
	v_cndmask_b32_e32 v22, 0, v22, vcc_lo
	v_cmp_nlt_f32_e32 vcc_lo, 0x42b17218, v13
	v_cndmask_b32_e32 v13, 0x7f800000, v22, vcc_lo
	s_delay_alu instid0(VALU_DEP_1) | instskip(NEXT) | instid1(VALU_DEP_1)
	v_add_f32_e32 v13, 1.0, v13
	v_div_scale_f32 v22, null, v13, v13, 1.0
	s_delay_alu instid0(VALU_DEP_1) | instskip(SKIP_2) | instid1(VALU_DEP_1)
	v_rcp_f32_e32 v24, v22
	s_waitcnt_depctr 0xfff
	v_fma_f32 v25, -v22, v24, 1.0
	v_fmac_f32_e32 v24, v25, v24
	v_div_scale_f32 v25, vcc_lo, 1.0, v13, 1.0
	s_delay_alu instid0(VALU_DEP_1) | instskip(NEXT) | instid1(VALU_DEP_1)
	v_mul_f32_e32 v26, v25, v24
	v_fma_f32 v27, -v22, v26, v25
	s_delay_alu instid0(VALU_DEP_1) | instskip(NEXT) | instid1(VALU_DEP_1)
	v_fmac_f32_e32 v26, v27, v24
	v_fma_f32 v22, -v22, v26, v25
	s_delay_alu instid0(VALU_DEP_1) | instskip(NEXT) | instid1(VALU_DEP_1)
	v_div_fmas_f32 v22, v22, v24, v26
	v_div_fixup_f32 v13, v22, v13, 1.0
.LBB14_11:
	s_or_b32 exec_lo, exec_lo, s2
	v_lshrrev_b32_e32 v24, 16, v14
	v_mov_b32_e32 v14, 0
	v_mov_b32_e32 v22, 0
	s_mov_b32 s2, exec_lo
	s_delay_alu instid0(VALU_DEP_3)
	v_cmpx_o_f16_e32 v24, v24
	s_cbranch_execz .LBB14_13
; %bb.12:
	v_cvt_f32_f16_e64 v22, -v24
	s_mov_b32 s3, 0x3fb8aa3b
	s_delay_alu instid0(VALU_DEP_1) | instskip(SKIP_1) | instid1(VALU_DEP_1)
	v_cmp_ngt_f32_e32 vcc_lo, 0xc2ce8ed0, v22
	v_mul_f32_e32 v25, 0x3fb8aa3b, v22
	v_rndne_f32_e32 v26, v25
	v_fma_mix_f32 v27, -v24, s3, -v25 op_sel_hi:[1,0,0]
	s_mov_b32 s3, 0x32a5705f
	s_delay_alu instid0(VALU_DEP_2) | instskip(NEXT) | instid1(VALU_DEP_2)
	v_sub_f32_e32 v25, v25, v26
	v_fma_mix_f32 v24, -v24, s3, v27 op_sel_hi:[1,0,0]
	s_delay_alu instid0(VALU_DEP_1) | instskip(SKIP_1) | instid1(VALU_DEP_2)
	v_add_f32_e32 v24, v25, v24
	v_cvt_i32_f32_e32 v25, v26
	v_exp_f32_e32 v24, v24
	s_waitcnt_depctr 0xfff
	v_ldexp_f32 v24, v24, v25
	s_delay_alu instid0(VALU_DEP_1) | instskip(SKIP_1) | instid1(VALU_DEP_2)
	v_cndmask_b32_e32 v24, 0, v24, vcc_lo
	v_cmp_nlt_f32_e32 vcc_lo, 0x42b17218, v22
	v_cndmask_b32_e32 v22, 0x7f800000, v24, vcc_lo
	s_delay_alu instid0(VALU_DEP_1) | instskip(NEXT) | instid1(VALU_DEP_1)
	v_add_f32_e32 v22, 1.0, v22
	v_div_scale_f32 v24, null, v22, v22, 1.0
	s_delay_alu instid0(VALU_DEP_1) | instskip(SKIP_2) | instid1(VALU_DEP_1)
	v_rcp_f32_e32 v25, v24
	s_waitcnt_depctr 0xfff
	v_fma_f32 v26, -v24, v25, 1.0
	v_fmac_f32_e32 v25, v26, v25
	v_div_scale_f32 v26, vcc_lo, 1.0, v22, 1.0
	s_delay_alu instid0(VALU_DEP_1) | instskip(NEXT) | instid1(VALU_DEP_1)
	v_mul_f32_e32 v27, v26, v25
	v_fma_f32 v28, -v24, v27, v26
	s_delay_alu instid0(VALU_DEP_1) | instskip(NEXT) | instid1(VALU_DEP_1)
	v_fmac_f32_e32 v27, v28, v25
	v_fma_f32 v24, -v24, v27, v26
	s_delay_alu instid0(VALU_DEP_1) | instskip(NEXT) | instid1(VALU_DEP_1)
	v_div_fmas_f32 v24, v24, v25, v27
	v_div_fixup_f32 v22, v24, v22, 1.0
.LBB14_13:
	s_or_b32 exec_lo, exec_lo, s2
	s_delay_alu instid0(SALU_CYCLE_1)
	s_mov_b32 s2, exec_lo
	v_cmpx_o_f16_e32 v15, v15
	s_cbranch_execz .LBB14_15
; %bb.14:
	v_cvt_f32_f16_e64 v14, -v15
	s_mov_b32 s3, 0x3fb8aa3b
	s_delay_alu instid0(VALU_DEP_1) | instskip(SKIP_1) | instid1(VALU_DEP_2)
	v_mul_f32_e32 v24, 0x3fb8aa3b, v14
	v_cmp_ngt_f32_e32 vcc_lo, 0xc2ce8ed0, v14
	v_rndne_f32_e32 v25, v24
	v_fma_mix_f32 v26, -v15, s3, -v24 op_sel_hi:[1,0,0]
	s_mov_b32 s3, 0x32a5705f
	s_delay_alu instid0(VALU_DEP_2) | instskip(NEXT) | instid1(VALU_DEP_2)
	v_sub_f32_e32 v24, v24, v25
	v_fma_mix_f32 v26, -v15, s3, v26 op_sel_hi:[1,0,0]
	v_cvt_i32_f32_e32 v25, v25
	s_delay_alu instid0(VALU_DEP_2) | instskip(NEXT) | instid1(VALU_DEP_1)
	v_add_f32_e32 v24, v24, v26
	v_exp_f32_e32 v24, v24
	s_waitcnt_depctr 0xfff
	v_ldexp_f32 v24, v24, v25
	s_delay_alu instid0(VALU_DEP_1) | instskip(SKIP_1) | instid1(VALU_DEP_2)
	v_cndmask_b32_e32 v24, 0, v24, vcc_lo
	v_cmp_nlt_f32_e32 vcc_lo, 0x42b17218, v14
	v_cndmask_b32_e32 v14, 0x7f800000, v24, vcc_lo
	s_delay_alu instid0(VALU_DEP_1) | instskip(NEXT) | instid1(VALU_DEP_1)
	v_add_f32_e32 v14, 1.0, v14
	v_div_scale_f32 v24, null, v14, v14, 1.0
	s_delay_alu instid0(VALU_DEP_1) | instskip(SKIP_2) | instid1(VALU_DEP_1)
	v_rcp_f32_e32 v25, v24
	s_waitcnt_depctr 0xfff
	v_fma_f32 v26, -v24, v25, 1.0
	v_fmac_f32_e32 v25, v26, v25
	v_div_scale_f32 v26, vcc_lo, 1.0, v14, 1.0
	s_delay_alu instid0(VALU_DEP_1) | instskip(NEXT) | instid1(VALU_DEP_1)
	v_mul_f32_e32 v27, v26, v25
	v_fma_f32 v28, -v24, v27, v26
	s_delay_alu instid0(VALU_DEP_1) | instskip(NEXT) | instid1(VALU_DEP_1)
	v_fmac_f32_e32 v27, v28, v25
	v_fma_f32 v24, -v24, v27, v26
	s_delay_alu instid0(VALU_DEP_1) | instskip(NEXT) | instid1(VALU_DEP_1)
	v_div_fmas_f32 v24, v24, v25, v27
	v_div_fixup_f32 v14, v24, v14, 1.0
.LBB14_15:
	s_or_b32 exec_lo, exec_lo, s2
	v_lshrrev_b32_e32 v25, 16, v15
	v_dual_mov_b32 v15, 0 :: v_dual_mov_b32 v24, 0
	s_mov_b32 s2, exec_lo
	s_delay_alu instid0(VALU_DEP_2)
	v_cmpx_o_f16_e32 v25, v25
	s_cbranch_execz .LBB14_17
; %bb.16:
	v_cvt_f32_f16_e64 v24, -v25
	s_mov_b32 s3, 0x3fb8aa3b
	s_delay_alu instid0(VALU_DEP_1) | instskip(SKIP_1) | instid1(VALU_DEP_1)
	v_cmp_ngt_f32_e32 vcc_lo, 0xc2ce8ed0, v24
	v_mul_f32_e32 v26, 0x3fb8aa3b, v24
	v_rndne_f32_e32 v27, v26
	v_fma_mix_f32 v28, -v25, s3, -v26 op_sel_hi:[1,0,0]
	s_mov_b32 s3, 0x32a5705f
	s_delay_alu instid0(VALU_DEP_2) | instskip(NEXT) | instid1(VALU_DEP_2)
	v_sub_f32_e32 v26, v26, v27
	v_fma_mix_f32 v25, -v25, s3, v28 op_sel_hi:[1,0,0]
	s_delay_alu instid0(VALU_DEP_1) | instskip(SKIP_1) | instid1(VALU_DEP_2)
	v_add_f32_e32 v25, v26, v25
	v_cvt_i32_f32_e32 v26, v27
	v_exp_f32_e32 v25, v25
	s_waitcnt_depctr 0xfff
	v_ldexp_f32 v25, v25, v26
	s_delay_alu instid0(VALU_DEP_1) | instskip(SKIP_1) | instid1(VALU_DEP_2)
	v_cndmask_b32_e32 v25, 0, v25, vcc_lo
	v_cmp_nlt_f32_e32 vcc_lo, 0x42b17218, v24
	v_cndmask_b32_e32 v24, 0x7f800000, v25, vcc_lo
	s_delay_alu instid0(VALU_DEP_1) | instskip(NEXT) | instid1(VALU_DEP_1)
	v_add_f32_e32 v24, 1.0, v24
	v_div_scale_f32 v25, null, v24, v24, 1.0
	s_delay_alu instid0(VALU_DEP_1) | instskip(SKIP_2) | instid1(VALU_DEP_1)
	v_rcp_f32_e32 v26, v25
	s_waitcnt_depctr 0xfff
	v_fma_f32 v27, -v25, v26, 1.0
	v_fmac_f32_e32 v26, v27, v26
	v_div_scale_f32 v27, vcc_lo, 1.0, v24, 1.0
	s_delay_alu instid0(VALU_DEP_1) | instskip(NEXT) | instid1(VALU_DEP_1)
	v_mul_f32_e32 v28, v27, v26
	v_fma_f32 v29, -v25, v28, v27
	s_delay_alu instid0(VALU_DEP_1) | instskip(NEXT) | instid1(VALU_DEP_1)
	v_fmac_f32_e32 v28, v29, v26
	v_fma_f32 v25, -v25, v28, v27
	s_delay_alu instid0(VALU_DEP_1) | instskip(NEXT) | instid1(VALU_DEP_1)
	v_div_fmas_f32 v25, v25, v26, v28
	v_div_fixup_f32 v24, v25, v24, 1.0
.LBB14_17:
	s_or_b32 exec_lo, exec_lo, s2
	s_delay_alu instid0(SALU_CYCLE_1)
	s_mov_b32 s2, exec_lo
	s_waitcnt vmcnt(2)
	v_cmpx_o_f16_e32 v8, v8
	s_cbranch_execz .LBB14_19
; %bb.18:
	v_cvt_f32_f16_e64 v15, -v8
	s_mov_b32 s3, 0x3fb8aa3b
	s_delay_alu instid0(VALU_DEP_1) | instskip(SKIP_1) | instid1(VALU_DEP_2)
	v_mul_f32_e32 v25, 0x3fb8aa3b, v15
	v_cmp_ngt_f32_e32 vcc_lo, 0xc2ce8ed0, v15
	v_rndne_f32_e32 v26, v25
	v_fma_mix_f32 v27, -v8, s3, -v25 op_sel_hi:[1,0,0]
	s_mov_b32 s3, 0x32a5705f
	s_delay_alu instid0(VALU_DEP_2) | instskip(NEXT) | instid1(VALU_DEP_2)
	v_sub_f32_e32 v25, v25, v26
	v_fma_mix_f32 v27, -v8, s3, v27 op_sel_hi:[1,0,0]
	v_cvt_i32_f32_e32 v26, v26
	s_delay_alu instid0(VALU_DEP_2) | instskip(NEXT) | instid1(VALU_DEP_1)
	v_add_f32_e32 v25, v25, v27
	v_exp_f32_e32 v25, v25
	s_waitcnt_depctr 0xfff
	v_ldexp_f32 v25, v25, v26
	s_delay_alu instid0(VALU_DEP_1) | instskip(SKIP_1) | instid1(VALU_DEP_2)
	v_cndmask_b32_e32 v25, 0, v25, vcc_lo
	v_cmp_nlt_f32_e32 vcc_lo, 0x42b17218, v15
	v_cndmask_b32_e32 v15, 0x7f800000, v25, vcc_lo
	s_delay_alu instid0(VALU_DEP_1) | instskip(NEXT) | instid1(VALU_DEP_1)
	v_add_f32_e32 v15, 1.0, v15
	v_div_scale_f32 v25, null, v15, v15, 1.0
	s_delay_alu instid0(VALU_DEP_1) | instskip(SKIP_2) | instid1(VALU_DEP_1)
	v_rcp_f32_e32 v26, v25
	s_waitcnt_depctr 0xfff
	v_fma_f32 v27, -v25, v26, 1.0
	v_fmac_f32_e32 v26, v27, v26
	v_div_scale_f32 v27, vcc_lo, 1.0, v15, 1.0
	s_delay_alu instid0(VALU_DEP_1) | instskip(NEXT) | instid1(VALU_DEP_1)
	v_mul_f32_e32 v28, v27, v26
	v_fma_f32 v29, -v25, v28, v27
	s_delay_alu instid0(VALU_DEP_1) | instskip(NEXT) | instid1(VALU_DEP_1)
	v_fmac_f32_e32 v28, v29, v26
	v_fma_f32 v25, -v25, v28, v27
	s_delay_alu instid0(VALU_DEP_1) | instskip(NEXT) | instid1(VALU_DEP_1)
	v_div_fmas_f32 v25, v25, v26, v28
	v_div_fixup_f32 v15, v25, v15, 1.0
.LBB14_19:
	s_or_b32 exec_lo, exec_lo, s2
	v_lshrrev_b32_e32 v26, 16, v8
	v_dual_mov_b32 v8, 0 :: v_dual_mov_b32 v25, 0
	s_mov_b32 s2, exec_lo
	s_delay_alu instid0(VALU_DEP_2)
	v_cmpx_o_f16_e32 v26, v26
	s_cbranch_execz .LBB14_21
; %bb.20:
	v_cvt_f32_f16_e64 v25, -v26
	s_mov_b32 s3, 0x3fb8aa3b
	s_delay_alu instid0(VALU_DEP_1) | instskip(SKIP_1) | instid1(VALU_DEP_1)
	v_cmp_ngt_f32_e32 vcc_lo, 0xc2ce8ed0, v25
	v_mul_f32_e32 v27, 0x3fb8aa3b, v25
	v_rndne_f32_e32 v28, v27
	v_fma_mix_f32 v29, -v26, s3, -v27 op_sel_hi:[1,0,0]
	s_mov_b32 s3, 0x32a5705f
	s_delay_alu instid0(VALU_DEP_2) | instskip(NEXT) | instid1(VALU_DEP_2)
	v_sub_f32_e32 v27, v27, v28
	v_fma_mix_f32 v26, -v26, s3, v29 op_sel_hi:[1,0,0]
	s_delay_alu instid0(VALU_DEP_1) | instskip(SKIP_1) | instid1(VALU_DEP_2)
	v_add_f32_e32 v26, v27, v26
	v_cvt_i32_f32_e32 v27, v28
	v_exp_f32_e32 v26, v26
	s_waitcnt_depctr 0xfff
	v_ldexp_f32 v26, v26, v27
	s_delay_alu instid0(VALU_DEP_1) | instskip(SKIP_1) | instid1(VALU_DEP_2)
	v_cndmask_b32_e32 v26, 0, v26, vcc_lo
	v_cmp_nlt_f32_e32 vcc_lo, 0x42b17218, v25
	v_cndmask_b32_e32 v25, 0x7f800000, v26, vcc_lo
	s_delay_alu instid0(VALU_DEP_1) | instskip(NEXT) | instid1(VALU_DEP_1)
	v_add_f32_e32 v25, 1.0, v25
	v_div_scale_f32 v26, null, v25, v25, 1.0
	s_delay_alu instid0(VALU_DEP_1) | instskip(SKIP_2) | instid1(VALU_DEP_1)
	v_rcp_f32_e32 v27, v26
	s_waitcnt_depctr 0xfff
	v_fma_f32 v28, -v26, v27, 1.0
	v_fmac_f32_e32 v27, v28, v27
	v_div_scale_f32 v28, vcc_lo, 1.0, v25, 1.0
	s_delay_alu instid0(VALU_DEP_1) | instskip(NEXT) | instid1(VALU_DEP_1)
	v_mul_f32_e32 v29, v28, v27
	v_fma_f32 v30, -v26, v29, v28
	s_delay_alu instid0(VALU_DEP_1) | instskip(NEXT) | instid1(VALU_DEP_1)
	v_fmac_f32_e32 v29, v30, v27
	v_fma_f32 v26, -v26, v29, v28
	s_delay_alu instid0(VALU_DEP_1) | instskip(NEXT) | instid1(VALU_DEP_1)
	v_div_fmas_f32 v26, v26, v27, v29
	v_div_fixup_f32 v25, v26, v25, 1.0
.LBB14_21:
	s_or_b32 exec_lo, exec_lo, s2
	s_delay_alu instid0(SALU_CYCLE_1)
	s_mov_b32 s2, exec_lo
	v_cmpx_o_f16_e32 v9, v9
	s_cbranch_execz .LBB14_23
; %bb.22:
	v_cvt_f32_f16_e64 v8, -v9
	s_mov_b32 s3, 0x3fb8aa3b
	s_delay_alu instid0(VALU_DEP_1) | instskip(SKIP_1) | instid1(VALU_DEP_2)
	v_mul_f32_e32 v26, 0x3fb8aa3b, v8
	v_cmp_ngt_f32_e32 vcc_lo, 0xc2ce8ed0, v8
	v_rndne_f32_e32 v27, v26
	v_fma_mix_f32 v28, -v9, s3, -v26 op_sel_hi:[1,0,0]
	s_mov_b32 s3, 0x32a5705f
	s_delay_alu instid0(VALU_DEP_2) | instskip(NEXT) | instid1(VALU_DEP_2)
	v_sub_f32_e32 v26, v26, v27
	v_fma_mix_f32 v28, -v9, s3, v28 op_sel_hi:[1,0,0]
	v_cvt_i32_f32_e32 v27, v27
	s_delay_alu instid0(VALU_DEP_2) | instskip(NEXT) | instid1(VALU_DEP_1)
	v_add_f32_e32 v26, v26, v28
	v_exp_f32_e32 v26, v26
	s_waitcnt_depctr 0xfff
	v_ldexp_f32 v26, v26, v27
	s_delay_alu instid0(VALU_DEP_1) | instskip(SKIP_1) | instid1(VALU_DEP_2)
	v_cndmask_b32_e32 v26, 0, v26, vcc_lo
	v_cmp_nlt_f32_e32 vcc_lo, 0x42b17218, v8
	v_cndmask_b32_e32 v8, 0x7f800000, v26, vcc_lo
	s_delay_alu instid0(VALU_DEP_1) | instskip(NEXT) | instid1(VALU_DEP_1)
	v_add_f32_e32 v8, 1.0, v8
	v_div_scale_f32 v26, null, v8, v8, 1.0
	s_delay_alu instid0(VALU_DEP_1) | instskip(SKIP_2) | instid1(VALU_DEP_1)
	v_rcp_f32_e32 v27, v26
	s_waitcnt_depctr 0xfff
	v_fma_f32 v28, -v26, v27, 1.0
	v_fmac_f32_e32 v27, v28, v27
	v_div_scale_f32 v28, vcc_lo, 1.0, v8, 1.0
	s_delay_alu instid0(VALU_DEP_1) | instskip(NEXT) | instid1(VALU_DEP_1)
	v_mul_f32_e32 v29, v28, v27
	v_fma_f32 v30, -v26, v29, v28
	s_delay_alu instid0(VALU_DEP_1) | instskip(NEXT) | instid1(VALU_DEP_1)
	v_fmac_f32_e32 v29, v30, v27
	v_fma_f32 v26, -v26, v29, v28
	s_delay_alu instid0(VALU_DEP_1) | instskip(NEXT) | instid1(VALU_DEP_1)
	v_div_fmas_f32 v26, v26, v27, v29
	v_div_fixup_f32 v8, v26, v8, 1.0
.LBB14_23:
	s_or_b32 exec_lo, exec_lo, s2
	v_lshrrev_b32_e32 v27, 16, v9
	v_dual_mov_b32 v9, 0 :: v_dual_mov_b32 v26, 0
	s_mov_b32 s2, exec_lo
	s_delay_alu instid0(VALU_DEP_2)
	v_cmpx_o_f16_e32 v27, v27
	s_cbranch_execz .LBB14_25
; %bb.24:
	v_cvt_f32_f16_e64 v26, -v27
	s_mov_b32 s3, 0x3fb8aa3b
	s_delay_alu instid0(VALU_DEP_1) | instskip(SKIP_1) | instid1(VALU_DEP_1)
	v_cmp_ngt_f32_e32 vcc_lo, 0xc2ce8ed0, v26
	v_mul_f32_e32 v28, 0x3fb8aa3b, v26
	v_rndne_f32_e32 v29, v28
	v_fma_mix_f32 v30, -v27, s3, -v28 op_sel_hi:[1,0,0]
	s_mov_b32 s3, 0x32a5705f
	s_delay_alu instid0(VALU_DEP_2) | instskip(NEXT) | instid1(VALU_DEP_2)
	v_sub_f32_e32 v28, v28, v29
	v_fma_mix_f32 v27, -v27, s3, v30 op_sel_hi:[1,0,0]
	s_delay_alu instid0(VALU_DEP_1) | instskip(SKIP_1) | instid1(VALU_DEP_2)
	v_add_f32_e32 v27, v28, v27
	v_cvt_i32_f32_e32 v28, v29
	v_exp_f32_e32 v27, v27
	s_waitcnt_depctr 0xfff
	v_ldexp_f32 v27, v27, v28
	s_delay_alu instid0(VALU_DEP_1) | instskip(SKIP_1) | instid1(VALU_DEP_2)
	v_cndmask_b32_e32 v27, 0, v27, vcc_lo
	v_cmp_nlt_f32_e32 vcc_lo, 0x42b17218, v26
	v_cndmask_b32_e32 v26, 0x7f800000, v27, vcc_lo
	s_delay_alu instid0(VALU_DEP_1) | instskip(NEXT) | instid1(VALU_DEP_1)
	v_add_f32_e32 v26, 1.0, v26
	v_div_scale_f32 v27, null, v26, v26, 1.0
	s_delay_alu instid0(VALU_DEP_1) | instskip(SKIP_2) | instid1(VALU_DEP_1)
	v_rcp_f32_e32 v28, v27
	s_waitcnt_depctr 0xfff
	v_fma_f32 v29, -v27, v28, 1.0
	v_fmac_f32_e32 v28, v29, v28
	v_div_scale_f32 v29, vcc_lo, 1.0, v26, 1.0
	s_delay_alu instid0(VALU_DEP_1) | instskip(NEXT) | instid1(VALU_DEP_1)
	v_mul_f32_e32 v30, v29, v28
	v_fma_f32 v31, -v27, v30, v29
	s_delay_alu instid0(VALU_DEP_1) | instskip(NEXT) | instid1(VALU_DEP_1)
	v_fmac_f32_e32 v30, v31, v28
	v_fma_f32 v27, -v27, v30, v29
	s_delay_alu instid0(VALU_DEP_1) | instskip(NEXT) | instid1(VALU_DEP_1)
	v_div_fmas_f32 v27, v27, v28, v30
	v_div_fixup_f32 v26, v27, v26, 1.0
.LBB14_25:
	s_or_b32 exec_lo, exec_lo, s2
	s_delay_alu instid0(SALU_CYCLE_1)
	s_mov_b32 s2, exec_lo
	v_cmpx_o_f16_e32 v10, v10
	s_cbranch_execz .LBB14_27
; %bb.26:
	v_cvt_f32_f16_e64 v9, -v10
	s_mov_b32 s3, 0x3fb8aa3b
	s_delay_alu instid0(VALU_DEP_1) | instskip(SKIP_1) | instid1(VALU_DEP_2)
	v_mul_f32_e32 v27, 0x3fb8aa3b, v9
	v_cmp_ngt_f32_e32 vcc_lo, 0xc2ce8ed0, v9
	v_rndne_f32_e32 v28, v27
	v_fma_mix_f32 v29, -v10, s3, -v27 op_sel_hi:[1,0,0]
	s_mov_b32 s3, 0x32a5705f
	s_delay_alu instid0(VALU_DEP_2) | instskip(NEXT) | instid1(VALU_DEP_2)
	v_sub_f32_e32 v27, v27, v28
	v_fma_mix_f32 v29, -v10, s3, v29 op_sel_hi:[1,0,0]
	v_cvt_i32_f32_e32 v28, v28
	s_delay_alu instid0(VALU_DEP_2) | instskip(NEXT) | instid1(VALU_DEP_1)
	v_add_f32_e32 v27, v27, v29
	v_exp_f32_e32 v27, v27
	s_waitcnt_depctr 0xfff
	v_ldexp_f32 v27, v27, v28
	s_delay_alu instid0(VALU_DEP_1) | instskip(SKIP_1) | instid1(VALU_DEP_2)
	v_cndmask_b32_e32 v27, 0, v27, vcc_lo
	v_cmp_nlt_f32_e32 vcc_lo, 0x42b17218, v9
	v_cndmask_b32_e32 v9, 0x7f800000, v27, vcc_lo
	s_delay_alu instid0(VALU_DEP_1) | instskip(NEXT) | instid1(VALU_DEP_1)
	v_add_f32_e32 v9, 1.0, v9
	v_div_scale_f32 v27, null, v9, v9, 1.0
	s_delay_alu instid0(VALU_DEP_1) | instskip(SKIP_2) | instid1(VALU_DEP_1)
	v_rcp_f32_e32 v28, v27
	s_waitcnt_depctr 0xfff
	v_fma_f32 v29, -v27, v28, 1.0
	v_fmac_f32_e32 v28, v29, v28
	v_div_scale_f32 v29, vcc_lo, 1.0, v9, 1.0
	s_delay_alu instid0(VALU_DEP_1) | instskip(NEXT) | instid1(VALU_DEP_1)
	v_mul_f32_e32 v30, v29, v28
	v_fma_f32 v31, -v27, v30, v29
	s_delay_alu instid0(VALU_DEP_1) | instskip(NEXT) | instid1(VALU_DEP_1)
	v_fmac_f32_e32 v30, v31, v28
	v_fma_f32 v27, -v27, v30, v29
	s_delay_alu instid0(VALU_DEP_1) | instskip(NEXT) | instid1(VALU_DEP_1)
	v_div_fmas_f32 v27, v27, v28, v30
	v_div_fixup_f32 v9, v27, v9, 1.0
.LBB14_27:
	s_or_b32 exec_lo, exec_lo, s2
	v_lshrrev_b32_e32 v28, 16, v10
	v_dual_mov_b32 v10, 0 :: v_dual_mov_b32 v27, 0
	s_mov_b32 s2, exec_lo
	s_delay_alu instid0(VALU_DEP_2)
	v_cmpx_o_f16_e32 v28, v28
	s_cbranch_execz .LBB14_29
; %bb.28:
	v_cvt_f32_f16_e64 v27, -v28
	s_mov_b32 s3, 0x3fb8aa3b
	s_delay_alu instid0(VALU_DEP_1) | instskip(SKIP_1) | instid1(VALU_DEP_1)
	v_cmp_ngt_f32_e32 vcc_lo, 0xc2ce8ed0, v27
	v_mul_f32_e32 v29, 0x3fb8aa3b, v27
	v_rndne_f32_e32 v30, v29
	v_fma_mix_f32 v31, -v28, s3, -v29 op_sel_hi:[1,0,0]
	s_mov_b32 s3, 0x32a5705f
	s_delay_alu instid0(VALU_DEP_2) | instskip(NEXT) | instid1(VALU_DEP_2)
	v_sub_f32_e32 v29, v29, v30
	v_fma_mix_f32 v28, -v28, s3, v31 op_sel_hi:[1,0,0]
	s_delay_alu instid0(VALU_DEP_1) | instskip(SKIP_1) | instid1(VALU_DEP_2)
	v_add_f32_e32 v28, v29, v28
	v_cvt_i32_f32_e32 v29, v30
	v_exp_f32_e32 v28, v28
	s_waitcnt_depctr 0xfff
	v_ldexp_f32 v28, v28, v29
	s_delay_alu instid0(VALU_DEP_1) | instskip(SKIP_1) | instid1(VALU_DEP_2)
	v_cndmask_b32_e32 v28, 0, v28, vcc_lo
	v_cmp_nlt_f32_e32 vcc_lo, 0x42b17218, v27
	v_cndmask_b32_e32 v27, 0x7f800000, v28, vcc_lo
	s_delay_alu instid0(VALU_DEP_1) | instskip(NEXT) | instid1(VALU_DEP_1)
	v_add_f32_e32 v27, 1.0, v27
	v_div_scale_f32 v28, null, v27, v27, 1.0
	s_delay_alu instid0(VALU_DEP_1) | instskip(SKIP_2) | instid1(VALU_DEP_1)
	v_rcp_f32_e32 v29, v28
	s_waitcnt_depctr 0xfff
	v_fma_f32 v30, -v28, v29, 1.0
	v_fmac_f32_e32 v29, v30, v29
	v_div_scale_f32 v30, vcc_lo, 1.0, v27, 1.0
	s_delay_alu instid0(VALU_DEP_1) | instskip(NEXT) | instid1(VALU_DEP_1)
	v_mul_f32_e32 v31, v30, v29
	v_fma_f32 v32, -v28, v31, v30
	s_delay_alu instid0(VALU_DEP_1) | instskip(NEXT) | instid1(VALU_DEP_1)
	v_fmac_f32_e32 v31, v32, v29
	v_fma_f32 v28, -v28, v31, v30
	s_delay_alu instid0(VALU_DEP_1) | instskip(NEXT) | instid1(VALU_DEP_1)
	v_div_fmas_f32 v28, v28, v29, v31
	v_div_fixup_f32 v27, v28, v27, 1.0
.LBB14_29:
	s_or_b32 exec_lo, exec_lo, s2
	s_delay_alu instid0(SALU_CYCLE_1)
	s_mov_b32 s2, exec_lo
	v_cmpx_o_f16_e32 v11, v11
	s_cbranch_execz .LBB14_31
; %bb.30:
	v_cvt_f32_f16_e64 v10, -v11
	s_mov_b32 s3, 0x3fb8aa3b
	s_delay_alu instid0(VALU_DEP_1) | instskip(SKIP_1) | instid1(VALU_DEP_2)
	v_mul_f32_e32 v28, 0x3fb8aa3b, v10
	v_cmp_ngt_f32_e32 vcc_lo, 0xc2ce8ed0, v10
	v_rndne_f32_e32 v29, v28
	v_fma_mix_f32 v30, -v11, s3, -v28 op_sel_hi:[1,0,0]
	s_mov_b32 s3, 0x32a5705f
	s_delay_alu instid0(VALU_DEP_2) | instskip(NEXT) | instid1(VALU_DEP_2)
	v_sub_f32_e32 v28, v28, v29
	v_fma_mix_f32 v30, -v11, s3, v30 op_sel_hi:[1,0,0]
	v_cvt_i32_f32_e32 v29, v29
	s_delay_alu instid0(VALU_DEP_2) | instskip(NEXT) | instid1(VALU_DEP_1)
	v_add_f32_e32 v28, v28, v30
	v_exp_f32_e32 v28, v28
	s_waitcnt_depctr 0xfff
	v_ldexp_f32 v28, v28, v29
	s_delay_alu instid0(VALU_DEP_1) | instskip(SKIP_1) | instid1(VALU_DEP_2)
	v_cndmask_b32_e32 v28, 0, v28, vcc_lo
	v_cmp_nlt_f32_e32 vcc_lo, 0x42b17218, v10
	v_cndmask_b32_e32 v10, 0x7f800000, v28, vcc_lo
	s_delay_alu instid0(VALU_DEP_1) | instskip(NEXT) | instid1(VALU_DEP_1)
	v_add_f32_e32 v10, 1.0, v10
	v_div_scale_f32 v28, null, v10, v10, 1.0
	s_delay_alu instid0(VALU_DEP_1) | instskip(SKIP_2) | instid1(VALU_DEP_1)
	v_rcp_f32_e32 v29, v28
	s_waitcnt_depctr 0xfff
	v_fma_f32 v30, -v28, v29, 1.0
	v_fmac_f32_e32 v29, v30, v29
	v_div_scale_f32 v30, vcc_lo, 1.0, v10, 1.0
	s_delay_alu instid0(VALU_DEP_1) | instskip(NEXT) | instid1(VALU_DEP_1)
	v_mul_f32_e32 v31, v30, v29
	v_fma_f32 v32, -v28, v31, v30
	s_delay_alu instid0(VALU_DEP_1) | instskip(NEXT) | instid1(VALU_DEP_1)
	v_fmac_f32_e32 v31, v32, v29
	v_fma_f32 v28, -v28, v31, v30
	s_delay_alu instid0(VALU_DEP_1) | instskip(NEXT) | instid1(VALU_DEP_1)
	v_div_fmas_f32 v28, v28, v29, v31
	v_div_fixup_f32 v10, v28, v10, 1.0
.LBB14_31:
	s_or_b32 exec_lo, exec_lo, s2
	v_lshrrev_b32_e32 v28, 16, v11
	v_mov_b32_e32 v11, 0
	s_mov_b32 s2, exec_lo
	s_delay_alu instid0(VALU_DEP_2)
	v_cmpx_o_f16_e32 v28, v28
	s_cbranch_execz .LBB14_33
; %bb.32:
	v_cvt_f32_f16_e64 v11, -v28
	s_mov_b32 s3, 0x3fb8aa3b
	s_delay_alu instid0(VALU_DEP_1) | instskip(SKIP_1) | instid1(VALU_DEP_1)
	v_cmp_ngt_f32_e32 vcc_lo, 0xc2ce8ed0, v11
	v_mul_f32_e32 v29, 0x3fb8aa3b, v11
	v_rndne_f32_e32 v30, v29
	v_fma_mix_f32 v31, -v28, s3, -v29 op_sel_hi:[1,0,0]
	s_mov_b32 s3, 0x32a5705f
	s_delay_alu instid0(VALU_DEP_2) | instskip(NEXT) | instid1(VALU_DEP_2)
	v_sub_f32_e32 v29, v29, v30
	v_fma_mix_f32 v28, -v28, s3, v31 op_sel_hi:[1,0,0]
	s_delay_alu instid0(VALU_DEP_1) | instskip(SKIP_1) | instid1(VALU_DEP_2)
	v_add_f32_e32 v28, v29, v28
	v_cvt_i32_f32_e32 v29, v30
	v_exp_f32_e32 v28, v28
	s_waitcnt_depctr 0xfff
	v_ldexp_f32 v28, v28, v29
	s_delay_alu instid0(VALU_DEP_1) | instskip(SKIP_1) | instid1(VALU_DEP_2)
	v_cndmask_b32_e32 v28, 0, v28, vcc_lo
	v_cmp_nlt_f32_e32 vcc_lo, 0x42b17218, v11
	v_cndmask_b32_e32 v11, 0x7f800000, v28, vcc_lo
	s_delay_alu instid0(VALU_DEP_1) | instskip(NEXT) | instid1(VALU_DEP_1)
	v_add_f32_e32 v11, 1.0, v11
	v_div_scale_f32 v28, null, v11, v11, 1.0
	s_delay_alu instid0(VALU_DEP_1) | instskip(SKIP_2) | instid1(VALU_DEP_1)
	v_rcp_f32_e32 v29, v28
	s_waitcnt_depctr 0xfff
	v_fma_f32 v30, -v28, v29, 1.0
	v_fmac_f32_e32 v29, v30, v29
	v_div_scale_f32 v30, vcc_lo, 1.0, v11, 1.0
	s_delay_alu instid0(VALU_DEP_1) | instskip(NEXT) | instid1(VALU_DEP_1)
	v_mul_f32_e32 v31, v30, v29
	v_fma_f32 v32, -v28, v31, v30
	s_delay_alu instid0(VALU_DEP_1) | instskip(NEXT) | instid1(VALU_DEP_1)
	v_fmac_f32_e32 v31, v32, v29
	v_fma_f32 v28, -v28, v31, v30
	s_delay_alu instid0(VALU_DEP_1) | instskip(NEXT) | instid1(VALU_DEP_1)
	v_div_fmas_f32 v28, v28, v29, v31
	v_div_fixup_f32 v11, v28, v11, 1.0
.LBB14_33:
	s_or_b32 exec_lo, exec_lo, s2
	s_waitcnt vmcnt(0)
	v_lshrrev_b32_e32 v28, 16, v4
	v_cvt_f32_f16_e32 v4, v4
	s_mov_b32 s2, exec_lo
	s_delay_alu instid0(VALU_DEP_2) | instskip(NEXT) | instid1(VALU_DEP_1)
	v_cvt_f32_f16_e32 v29, v28
	v_dual_add_f32 v28, v19, v4 :: v_dual_add_f32 v29, v20, v29
	s_delay_alu instid0(VALU_DEP_1) | instskip(NEXT) | instid1(VALU_DEP_1)
	v_dual_max_f32 v30, 0xff7fffff, v28 :: v_dual_mov_b32 v31, v29
	v_mov_b32_e32 v4, v30
	v_cmpx_ngt_f32_e32 v29, v30
	s_cbranch_execz .LBB14_37
; %bb.34:
	v_mov_b32_e32 v4, 0xff7fffff
	s_mov_b32 s3, exec_lo
	v_cmpx_lt_f32_e32 0xff7fffff, v29
; %bb.35:
	v_mov_b32_e32 v4, v29
; %bb.36:
	s_or_b32 exec_lo, exec_lo, s3
	v_mov_b32_e32 v31, v30
.LBB14_37:
	s_or_b32 exec_lo, exec_lo, s2
	v_cvt_f32_f16_e32 v30, v5
	s_mov_b32 s2, exec_lo
	s_delay_alu instid0(VALU_DEP_1) | instskip(NEXT) | instid1(VALU_DEP_1)
	v_add_f32_e32 v30, v12, v30
	v_dual_mov_b32 v32, v31 :: v_dual_mov_b32 v33, v30
	v_cmpx_ngt_f32_e32 v30, v31
	s_cbranch_execz .LBB14_41
; %bb.38:
	s_mov_b32 s3, exec_lo
	v_cmpx_gt_f32_e32 v30, v4
; %bb.39:
	v_mov_b32_e32 v4, v30
; %bb.40:
	s_or_b32 exec_lo, exec_lo, s3
	s_delay_alu instid0(VALU_DEP_1)
	v_dual_mov_b32 v32, v4 :: v_dual_mov_b32 v33, v31
.LBB14_41:
	s_or_b32 exec_lo, exec_lo, s2
	v_lshrrev_b32_e32 v4, 16, v5
	s_mov_b32 s2, exec_lo
	s_delay_alu instid0(VALU_DEP_1) | instskip(NEXT) | instid1(VALU_DEP_1)
	v_cvt_f32_f16_e32 v4, v4
	v_add_f32_e32 v31, v21, v4
	s_delay_alu instid0(VALU_DEP_1)
	v_dual_mov_b32 v34, v33 :: v_dual_mov_b32 v35, v31
	v_cmpx_ngt_f32_e32 v31, v33
	s_cbranch_execz .LBB14_45
; %bb.42:
	s_mov_b32 s3, exec_lo
	v_cmpx_gt_f32_e32 v31, v32
; %bb.43:
	v_mov_b32_e32 v32, v31
; %bb.44:
	s_or_b32 exec_lo, exec_lo, s3
	s_delay_alu instid0(VALU_DEP_1)
	v_dual_mov_b32 v34, v32 :: v_dual_mov_b32 v35, v33
.LBB14_45:
	s_or_b32 exec_lo, exec_lo, s2
	v_cvt_f32_f16_e32 v4, v6
	s_mov_b32 s2, exec_lo
	s_delay_alu instid0(VALU_DEP_1) | instskip(NEXT) | instid1(VALU_DEP_1)
	v_add_f32_e32 v32, v13, v4
	v_dual_mov_b32 v4, v35 :: v_dual_mov_b32 v5, v32
	v_cmpx_ngt_f32_e32 v32, v35
	s_cbranch_execz .LBB14_49
; %bb.46:
	s_mov_b32 s3, exec_lo
	v_cmpx_gt_f32_e32 v32, v34
; %bb.47:
	v_mov_b32_e32 v34, v32
; %bb.48:
	s_or_b32 exec_lo, exec_lo, s3
	s_delay_alu instid0(VALU_DEP_1)
	v_dual_mov_b32 v4, v34 :: v_dual_mov_b32 v5, v35
.LBB14_49:
	s_or_b32 exec_lo, exec_lo, s2
	v_lshrrev_b32_e32 v6, 16, v6
	s_mov_b32 s2, exec_lo
	s_delay_alu instid0(VALU_DEP_1) | instskip(NEXT) | instid1(VALU_DEP_1)
	v_cvt_f32_f16_e32 v6, v6
	v_add_f32_e32 v6, v22, v6
	s_delay_alu instid0(VALU_DEP_1)
	v_dual_mov_b32 v34, v5 :: v_dual_mov_b32 v35, v6
	v_cmpx_ngt_f32_e32 v6, v5
	s_cbranch_execz .LBB14_53
; %bb.50:
	s_mov_b32 s3, exec_lo
	v_cmpx_gt_f32_e32 v6, v4
; %bb.51:
	v_mov_b32_e32 v4, v6
; %bb.52:
	s_or_b32 exec_lo, exec_lo, s3
	s_delay_alu instid0(VALU_DEP_1)
	v_dual_mov_b32 v34, v4 :: v_dual_mov_b32 v35, v5
.LBB14_53:
	s_or_b32 exec_lo, exec_lo, s2
	v_cvt_f32_f16_e32 v4, v7
	s_mov_b32 s2, exec_lo
	s_delay_alu instid0(VALU_DEP_1) | instskip(NEXT) | instid1(VALU_DEP_1)
	v_dual_add_f32 v33, v14, v4 :: v_dual_mov_b32 v4, v35
	v_mov_b32_e32 v5, v33
	v_cmpx_ngt_f32_e32 v33, v35
	s_cbranch_execz .LBB14_57
; %bb.54:
	s_mov_b32 s3, exec_lo
	v_cmpx_gt_f32_e32 v33, v34
; %bb.55:
	v_mov_b32_e32 v34, v33
; %bb.56:
	s_or_b32 exec_lo, exec_lo, s3
	s_delay_alu instid0(VALU_DEP_1)
	v_dual_mov_b32 v4, v34 :: v_dual_mov_b32 v5, v35
.LBB14_57:
	s_or_b32 exec_lo, exec_lo, s2
	v_lshrrev_b32_e32 v7, 16, v7
	s_mov_b32 s2, exec_lo
	s_delay_alu instid0(VALU_DEP_1) | instskip(NEXT) | instid1(VALU_DEP_1)
	v_cvt_f32_f16_e32 v7, v7
	v_add_f32_e32 v7, v24, v7
	s_delay_alu instid0(VALU_DEP_1)
	v_dual_mov_b32 v35, v5 :: v_dual_mov_b32 v36, v7
	v_cmpx_ngt_f32_e32 v7, v5
	s_cbranch_execz .LBB14_61
; %bb.58:
	s_mov_b32 s3, exec_lo
	v_cmpx_gt_f32_e32 v7, v4
; %bb.59:
	v_mov_b32_e32 v4, v7
; %bb.60:
	s_or_b32 exec_lo, exec_lo, s3
	s_delay_alu instid0(VALU_DEP_1)
	v_dual_mov_b32 v35, v4 :: v_dual_mov_b32 v36, v5
.LBB14_61:
	s_or_b32 exec_lo, exec_lo, s2
	v_cvt_f32_f16_e32 v4, v0
	s_mov_b32 s2, exec_lo
	s_delay_alu instid0(VALU_DEP_1) | instskip(NEXT) | instid1(VALU_DEP_1)
	v_add_f32_e32 v34, v15, v4
	v_dual_mov_b32 v4, v36 :: v_dual_mov_b32 v5, v34
	v_cmpx_ngt_f32_e32 v34, v36
	s_cbranch_execz .LBB14_65
; %bb.62:
	s_mov_b32 s3, exec_lo
	v_cmpx_gt_f32_e32 v34, v35
; %bb.63:
	v_mov_b32_e32 v35, v34
; %bb.64:
	s_or_b32 exec_lo, exec_lo, s3
	s_delay_alu instid0(VALU_DEP_1)
	v_dual_mov_b32 v4, v35 :: v_dual_mov_b32 v5, v36
.LBB14_65:
	s_or_b32 exec_lo, exec_lo, s2
	v_lshrrev_b32_e32 v0, 16, v0
	s_mov_b32 s2, exec_lo
	s_delay_alu instid0(VALU_DEP_1) | instskip(NEXT) | instid1(VALU_DEP_1)
	v_cvt_f32_f16_e32 v0, v0
	v_add_f32_e32 v35, v25, v0
	s_delay_alu instid0(VALU_DEP_1)
	v_dual_mov_b32 v37, v5 :: v_dual_mov_b32 v38, v35
	v_cmpx_ngt_f32_e32 v35, v5
	s_cbranch_execz .LBB14_69
; %bb.66:
	s_mov_b32 s3, exec_lo
	v_cmpx_gt_f32_e32 v35, v4
; %bb.67:
	v_mov_b32_e32 v4, v35
; %bb.68:
	s_or_b32 exec_lo, exec_lo, s3
	s_delay_alu instid0(VALU_DEP_1)
	v_dual_mov_b32 v37, v4 :: v_dual_mov_b32 v38, v5
.LBB14_69:
	s_or_b32 exec_lo, exec_lo, s2
	v_cvt_f32_f16_e32 v0, v1
	s_mov_b32 s2, exec_lo
	s_delay_alu instid0(VALU_DEP_1) | instskip(SKIP_1) | instid1(VALU_DEP_2)
	v_add_f32_e32 v36, v8, v0
	v_mov_b32_e32 v0, v38
	v_mov_b32_e32 v4, v36
	v_cmpx_ngt_f32_e32 v36, v38
	s_cbranch_execz .LBB14_73
; %bb.70:
	s_mov_b32 s3, exec_lo
	v_cmpx_gt_f32_e32 v36, v37
; %bb.71:
	v_mov_b32_e32 v37, v36
; %bb.72:
	s_or_b32 exec_lo, exec_lo, s3
	s_delay_alu instid0(VALU_DEP_1)
	v_mov_b32_e32 v0, v37
	v_mov_b32_e32 v4, v38
.LBB14_73:
	s_or_b32 exec_lo, exec_lo, s2
	v_lshrrev_b32_e32 v1, 16, v1
	s_delay_alu instid0(VALU_DEP_2) | instskip(SKIP_1) | instid1(VALU_DEP_2)
	v_mov_b32_e32 v5, v4
	s_mov_b32 s2, exec_lo
	v_cvt_f32_f16_e32 v1, v1
	s_delay_alu instid0(VALU_DEP_1) | instskip(NEXT) | instid1(VALU_DEP_1)
	v_add_f32_e32 v37, v26, v1
	v_mov_b32_e32 v39, v37
	v_cmpx_ngt_f32_e32 v37, v4
	s_cbranch_execz .LBB14_77
; %bb.74:
	s_mov_b32 s3, exec_lo
	v_cmpx_gt_f32_e32 v37, v0
; %bb.75:
	v_mov_b32_e32 v0, v37
; %bb.76:
	s_or_b32 exec_lo, exec_lo, s3
	s_delay_alu instid0(VALU_DEP_1)
	v_mov_b32_e32 v5, v0
	v_mov_b32_e32 v39, v4
.LBB14_77:
	s_or_b32 exec_lo, exec_lo, s2
	v_cvt_f32_f16_e32 v0, v2
	s_mov_b32 s2, exec_lo
	s_delay_alu instid0(VALU_DEP_1) | instskip(NEXT) | instid1(VALU_DEP_1)
	v_add_f32_e32 v38, v9, v0
	v_dual_mov_b32 v0, v39 :: v_dual_mov_b32 v1, v38
	v_cmpx_ngt_f32_e32 v38, v39
	s_cbranch_execz .LBB14_81
; %bb.78:
	s_mov_b32 s3, exec_lo
	v_cmpx_gt_f32_e32 v38, v5
; %bb.79:
	v_mov_b32_e32 v5, v38
; %bb.80:
	s_or_b32 exec_lo, exec_lo, s3
	s_delay_alu instid0(VALU_DEP_1)
	v_dual_mov_b32 v0, v5 :: v_dual_mov_b32 v1, v39
.LBB14_81:
	s_or_b32 exec_lo, exec_lo, s2
	v_lshrrev_b32_e32 v2, 16, v2
	s_mov_b32 s2, exec_lo
	s_delay_alu instid0(VALU_DEP_1) | instskip(NEXT) | instid1(VALU_DEP_1)
	v_cvt_f32_f16_e32 v2, v2
	v_dual_add_f32 v39, v27, v2 :: v_dual_mov_b32 v2, v1
	s_delay_alu instid0(VALU_DEP_1)
	v_mov_b32_e32 v4, v39
	v_cmpx_ngt_f32_e32 v39, v1
	s_cbranch_execz .LBB14_85
; %bb.82:
	s_mov_b32 s3, exec_lo
	v_cmpx_gt_f32_e32 v39, v0
; %bb.83:
	v_mov_b32_e32 v0, v39
; %bb.84:
	s_or_b32 exec_lo, exec_lo, s3
	s_delay_alu instid0(VALU_DEP_1)
	v_mov_b32_e32 v2, v0
	v_mov_b32_e32 v4, v1
.LBB14_85:
	s_or_b32 exec_lo, exec_lo, s2
	v_cvt_f32_f16_e32 v0, v3
	s_mov_b32 s2, exec_lo
	s_delay_alu instid0(VALU_DEP_1) | instskip(SKIP_1) | instid1(VALU_DEP_2)
	v_add_f32_e32 v40, v10, v0
	v_mov_b32_e32 v0, v4
	v_mov_b32_e32 v1, v40
	v_cmpx_ngt_f32_e32 v40, v4
	s_cbranch_execz .LBB14_89
; %bb.86:
	s_mov_b32 s3, exec_lo
	v_cmpx_gt_f32_e32 v40, v2
; %bb.87:
	v_mov_b32_e32 v2, v40
; %bb.88:
	s_or_b32 exec_lo, exec_lo, s3
	s_delay_alu instid0(VALU_DEP_1)
	v_dual_mov_b32 v0, v2 :: v_dual_mov_b32 v1, v4
.LBB14_89:
	s_or_b32 exec_lo, exec_lo, s2
	v_lshrrev_b32_e32 v2, 16, v3
	s_mov_b32 s2, exec_lo
	s_delay_alu instid0(VALU_DEP_1) | instskip(NEXT) | instid1(VALU_DEP_1)
	v_cvt_f32_f16_e32 v2, v2
	v_dual_add_f32 v41, v11, v2 :: v_dual_mov_b32 v2, v1
	s_delay_alu instid0(VALU_DEP_1)
	v_mov_b32_e32 v3, v41
	v_cmpx_ngt_f32_e32 v41, v1
	s_cbranch_execz .LBB14_93
; %bb.90:
	s_mov_b32 s3, exec_lo
	v_cmpx_gt_f32_e32 v41, v0
; %bb.91:
	v_mov_b32_e32 v0, v41
; %bb.92:
	s_or_b32 exec_lo, exec_lo, s3
	s_delay_alu instid0(VALU_DEP_1)
	v_dual_mov_b32 v2, v0 :: v_dual_mov_b32 v3, v1
.LBB14_93:
	s_or_b32 exec_lo, exec_lo, s2
	v_cmp_lt_i64_e64 s2, s[26:27], 8
	v_lshlrev_b32_e32 v42, 4, v18
	s_delay_alu instid0(VALU_DEP_2)
	s_and_b32 vcc_lo, exec_lo, s2
	s_cbranch_vccz .LBB14_96
; %bb.94:
	v_add_f32_e32 v0, v2, v3
	s_sub_u32 s4, 8, s26
	s_subb_u32 s5, 0, s27
	s_mov_b64 s[6:7], 0
.LBB14_95:                              ; =>This Inner Loop Header: Depth=1
	s_delay_alu instid0(VALU_DEP_1) | instskip(SKIP_1) | instid1(VALU_DEP_2)
	v_mov_b32_dpp v1, v0 quad_perm:[1,0,3,2] row_mask:0xf bank_mask:0xf
	v_mov_b32_dpp v2, v42 quad_perm:[1,0,3,2] row_mask:0xf bank_mask:0xf
	v_cmp_eq_f32_e32 vcc_lo, v0, v1
	s_delay_alu instid0(VALU_DEP_2) | instskip(SKIP_1) | instid1(VALU_DEP_2)
	v_cmp_lt_i32_e64 s2, v42, v2
	v_cmp_lt_f32_e64 s3, v0, v1
	s_and_b32 s2, s2, vcc_lo
	s_delay_alu instid0(VALU_DEP_1) | instid1(SALU_CYCLE_1)
	s_or_b32 vcc_lo, s3, s2
	v_dual_cndmask_b32 v1, v1, v0 :: v_dual_cndmask_b32 v2, v2, v42
	s_delay_alu instid0(VALU_DEP_1) | instskip(NEXT) | instid1(VALU_DEP_2)
	v_mov_b32_dpp v3, v1 quad_perm:[2,3,0,1] row_mask:0xf bank_mask:0xf
	v_mov_b32_dpp v4, v2 quad_perm:[2,3,0,1] row_mask:0xf bank_mask:0xf
	s_delay_alu instid0(VALU_DEP_2) | instskip(NEXT) | instid1(VALU_DEP_2)
	v_cmp_eq_f32_e32 vcc_lo, v1, v3
	v_cmp_lt_i32_e64 s2, v2, v4
	s_delay_alu instid0(VALU_DEP_1) | instskip(SKIP_2) | instid1(VALU_DEP_2)
	s_and_b32 vcc_lo, vcc_lo, s2
	v_cmp_lt_f32_e64 s2, v1, v3
	v_cndmask_b32_e32 v5, v3, v1, vcc_lo
	s_or_b32 vcc_lo, s2, vcc_lo
	s_add_u32 s6, s6, 1
	v_cndmask_b32_e32 v2, v4, v2, vcc_lo
	s_delay_alu instid0(VALU_DEP_2) | instskip(SKIP_1) | instid1(SALU_CYCLE_1)
	v_cndmask_b32_e64 v1, v5, v1, s2
	s_addc_u32 s7, s7, 0
	v_cmp_le_i64_e64 s2, s[4:5], s[6:7]
	s_delay_alu instid0(VALU_DEP_3) | instskip(NEXT) | instid1(VALU_DEP_3)
	v_mov_b32_dpp v3, v2 row_half_mirror row_mask:0xf bank_mask:0xf
	v_mov_b32_dpp v4, v1 row_half_mirror row_mask:0xf bank_mask:0xf
	s_delay_alu instid0(VALU_DEP_2) | instskip(NEXT) | instid1(VALU_DEP_2)
	v_min_i32_e32 v5, v2, v3
	v_cmp_eq_f32_e32 vcc_lo, v1, v4
	s_delay_alu instid0(VALU_DEP_2) | instskip(SKIP_1) | instid1(VALU_DEP_2)
	v_cndmask_b32_e32 v3, v3, v5, vcc_lo
	v_cmp_lt_f32_e32 vcc_lo, v1, v4
	v_cndmask_b32_e32 v1, v3, v2, vcc_lo
	s_delay_alu instid0(VALU_DEP_1) | instskip(NEXT) | instid1(VALU_DEP_1)
	v_ashrrev_i32_e32 v2, 31, v1
	v_lshrrev_b32_e32 v2, 28, v2
	s_delay_alu instid0(VALU_DEP_1) | instskip(NEXT) | instid1(VALU_DEP_1)
	v_add_nc_u32_e32 v1, v1, v2
	v_ashrrev_i32_e32 v1, 4, v1
	s_delay_alu instid0(VALU_DEP_1)
	v_cmp_eq_u32_e32 vcc_lo, v18, v1
	v_cndmask_b32_e64 v28, v28, 0x7f7fffff, vcc_lo
	v_cndmask_b32_e64 v0, v0, 0x7f7fffff, vcc_lo
	s_and_b32 vcc_lo, exec_lo, s2
	s_cbranch_vccz .LBB14_95
.LBB14_96:
	s_sub_u32 s18, s28, s30
	s_subb_u32 s19, s29, s31
	s_mov_b64 s[2:3], src_shared_base
	s_cmp_lg_u32 0, -1
	v_lshlrev_b32_e32 v4, 2, v23
	s_cselect_b32 s2, s3, 0
	s_cselect_b32 s3, 0, 0
	s_load_b32 s26, s[0:1], 0x48
	s_add_u32 s4, s3, 0xff
	s_addc_u32 s3, s2, 0
	s_and_b32 s2, s4, 0xffffff00
	s_delay_alu instid0(SALU_CYCLE_1) | instskip(SKIP_1) | instid1(VALU_DEP_1)
	v_mad_u64_u32 v[0:1], null, v4, s28, s[2:3]
	v_cmp_lt_i64_e64 s2, s[18:19], 1
	s_and_b32 vcc_lo, exec_lo, s2
	s_delay_alu instid0(VALU_DEP_2) | instskip(SKIP_1) | instid1(VALU_DEP_2)
	v_mad_u64_u32 v[2:3], null, v4, s29, v[1:2]
	v_cmp_eq_u32_e64 s2, 0, v18
	v_mov_b32_e32 v1, v2
	s_cbranch_vccnz .LBB14_107
; %bb.97:
	s_waitcnt lgkmcnt(0)
	v_mad_u64_u32 v[2:3], null, s26, v16, 0
	s_ashr_i32 s3, s26, 31
	v_mul_u32_u24_e32 v43, 16, v18
	v_mov_b32_e32 v23, 0
	s_mov_b64 s[24:25], 0
	s_delay_alu instid0(VALU_DEP_3) | instskip(NEXT) | instid1(VALU_DEP_1)
	v_mad_u64_u32 v[4:5], null, s3, v16, v[3:4]
	v_mov_b32_e32 v3, v4
	v_dual_mov_b32 v5, v1 :: v_dual_mov_b32 v4, v0
	s_delay_alu instid0(VALU_DEP_2) | instskip(NEXT) | instid1(VALU_DEP_1)
	v_lshlrev_b64 v[2:3], 2, v[2:3]
	v_add_co_u32 v2, vcc_lo, s22, v2
	s_delay_alu instid0(VALU_DEP_2)
	v_add_co_ci_u32_e32 v3, vcc_lo, s23, v3, vcc_lo
	s_branch .LBB14_99
.LBB14_98:                              ;   in Loop: Header=BB14_99 Depth=1
	s_or_b32 exec_lo, exec_lo, s3
	s_add_u32 s24, s24, 1
	s_addc_u32 s25, s25, 0
	v_add_co_u32 v2, vcc_lo, v2, 4
	v_cmp_le_i64_e64 s3, s[18:19], s[24:25]
	v_add_co_ci_u32_e32 v3, vcc_lo, 0, v3, vcc_lo
	v_add_co_u32 v4, vcc_lo, v4, 4
	v_add_co_ci_u32_e32 v5, vcc_lo, 0, v5, vcc_lo
	s_delay_alu instid0(VALU_DEP_4)
	s_and_b32 vcc_lo, exec_lo, s3
	s_cbranch_vccnz .LBB14_108
.LBB14_99:                              ; =>This Inner Loop Header: Depth=1
	v_dual_mov_b32 v44, 0xff7fffff :: v_dual_mov_b32 v45, v42
	s_mov_b32 s3, exec_lo
	v_cmpx_neq_f32_e32 0x7f7fffff, v28
	s_cbranch_execz .LBB14_101
; %bb.100:                              ;   in Loop: Header=BB14_99 Depth=1
	v_cmp_gt_f32_e32 vcc_lo, v29, v28
	v_cndmask_b32_e32 v44, v28, v29, vcc_lo
	v_cndmask_b32_e64 v45, 0, 1, vcc_lo
	s_delay_alu instid0(VALU_DEP_2) | instskip(SKIP_1) | instid1(VALU_DEP_3)
	v_cmp_gt_f32_e32 vcc_lo, v30, v44
	v_cndmask_b32_e32 v44, v44, v30, vcc_lo
	v_cndmask_b32_e64 v45, v45, 2, vcc_lo
	s_delay_alu instid0(VALU_DEP_2) | instskip(SKIP_1) | instid1(VALU_DEP_3)
	;; [unrolled: 4-line block ×13, first 2 shown]
	v_cmp_gt_f32_e32 vcc_lo, v40, v44
	v_cndmask_b32_e32 v44, v44, v40, vcc_lo
	v_cndmask_b32_e64 v45, v45, 14, vcc_lo
	s_delay_alu instid0(VALU_DEP_2) | instskip(NEXT) | instid1(VALU_DEP_2)
	v_cmp_gt_f32_e32 vcc_lo, v41, v44
	v_cndmask_b32_e64 v45, v45, 15, vcc_lo
	v_cndmask_b32_e32 v44, v44, v41, vcc_lo
	s_delay_alu instid0(VALU_DEP_2)
	v_or_b32_e32 v45, v45, v42
.LBB14_101:                             ;   in Loop: Header=BB14_99 Depth=1
	s_or_b32 exec_lo, exec_lo, s3
	s_delay_alu instid0(VALU_DEP_2) | instskip(NEXT) | instid1(VALU_DEP_2)
	v_mov_b32_dpp v46, v44 quad_perm:[1,0,3,2] row_mask:0xf bank_mask:0xf
	v_mov_b32_dpp v47, v45 quad_perm:[1,0,3,2] row_mask:0xf bank_mask:0xf
	s_mov_b32 s27, exec_lo
	s_delay_alu instid0(VALU_DEP_2) | instskip(NEXT) | instid1(VALU_DEP_2)
	v_cmp_eq_f32_e32 vcc_lo, v44, v46
	v_cmp_lt_i32_e64 s3, v45, v47
	v_cmp_gt_f32_e64 s4, v44, v46
	s_delay_alu instid0(VALU_DEP_2)
	s_and_b32 s3, vcc_lo, s3
	s_delay_alu instid0(VALU_DEP_1) | instid1(SALU_CYCLE_1)
	s_or_b32 vcc_lo, s4, s3
	v_dual_cndmask_b32 v44, v46, v44 :: v_dual_cndmask_b32 v45, v47, v45
	s_delay_alu instid0(VALU_DEP_1) | instskip(NEXT) | instid1(VALU_DEP_2)
	v_mov_b32_dpp v46, v44 quad_perm:[2,3,0,1] row_mask:0xf bank_mask:0xf
	v_mov_b32_dpp v47, v45 quad_perm:[2,3,0,1] row_mask:0xf bank_mask:0xf
	s_delay_alu instid0(VALU_DEP_2) | instskip(NEXT) | instid1(VALU_DEP_2)
	v_cmp_eq_f32_e32 vcc_lo, v44, v46
	v_cmp_lt_i32_e64 s3, v45, v47
	s_delay_alu instid0(VALU_DEP_1) | instskip(SKIP_2) | instid1(VALU_DEP_2)
	s_and_b32 vcc_lo, vcc_lo, s3
	v_cmp_gt_f32_e64 s3, v44, v46
	v_cndmask_b32_e32 v48, v46, v44, vcc_lo
	s_or_b32 vcc_lo, s3, vcc_lo
	v_cndmask_b32_e32 v45, v47, v45, vcc_lo
	s_delay_alu instid0(VALU_DEP_2) | instskip(NEXT) | instid1(VALU_DEP_2)
	v_cndmask_b32_e64 v44, v48, v44, s3
	v_mov_b32_dpp v46, v45 row_half_mirror row_mask:0xf bank_mask:0xf
	s_delay_alu instid0(VALU_DEP_2) | instskip(NEXT) | instid1(VALU_DEP_2)
	v_mov_b32_dpp v47, v44 row_half_mirror row_mask:0xf bank_mask:0xf
	v_min_i32_e32 v48, v45, v46
	s_delay_alu instid0(VALU_DEP_2) | instskip(NEXT) | instid1(VALU_DEP_2)
	v_cmp_eq_f32_e32 vcc_lo, v44, v47
	v_cndmask_b32_e32 v46, v46, v48, vcc_lo
	v_cmp_gt_f32_e32 vcc_lo, v44, v47
	s_delay_alu instid0(VALU_DEP_2) | instskip(NEXT) | instid1(VALU_DEP_1)
	v_cndmask_b32_e32 v44, v46, v45, vcc_lo
	v_ashrrev_i32_e32 v45, 31, v44
	s_delay_alu instid0(VALU_DEP_1) | instskip(NEXT) | instid1(VALU_DEP_1)
	v_lshrrev_b32_e32 v45, 28, v45
	v_add_nc_u32_e32 v45, v44, v45
	s_delay_alu instid0(VALU_DEP_1) | instskip(NEXT) | instid1(VALU_DEP_1)
	v_ashrrev_i32_e32 v45, 4, v45
	v_cmpx_eq_u32_e64 v18, v45
	s_cbranch_execz .LBB14_105
; %bb.102:                              ;   in Loop: Header=BB14_99 Depth=1
	v_sub_nc_u32_e32 v45, v44, v43
	s_mov_b32 s33, exec_lo
	s_delay_alu instid0(VALU_DEP_1)
	v_cmp_eq_u32_e32 vcc_lo, 1, v45
	v_cmp_eq_u32_e64 s3, 2, v45
	v_cmp_eq_u32_e64 s4, 3, v45
	;; [unrolled: 1-line block ×14, first 2 shown]
	v_cmpx_gt_u32_e32 16, v45
	s_cbranch_execz .LBB14_104
; %bb.103:                              ;   in Loop: Header=BB14_99 Depth=1
	v_cndmask_b32_e32 v46, v19, v20, vcc_lo
	s_delay_alu instid0(VALU_DEP_1) | instskip(NEXT) | instid1(VALU_DEP_1)
	v_cndmask_b32_e64 v46, v46, v12, s3
	v_cndmask_b32_e64 v46, v46, v21, s4
	s_delay_alu instid0(VALU_DEP_1) | instskip(NEXT) | instid1(VALU_DEP_1)
	v_cndmask_b32_e64 v46, v46, v13, s5
	v_cndmask_b32_e64 v46, v46, v22, s6
	;; [unrolled: 3-line block ×7, first 2 shown]
	flat_store_b32 v[4:5], v46
.LBB14_104:                             ;   in Loop: Header=BB14_99 Depth=1
	s_or_b32 exec_lo, exec_lo, s33
	v_cmp_ne_u32_e64 s17, 0, v45
	v_cndmask_b32_e64 v29, v29, 0xff7fffff, vcc_lo
	v_cndmask_b32_e64 v30, v30, 0xff7fffff, s3
	v_cndmask_b32_e64 v31, v31, 0xff7fffff, s4
	;; [unrolled: 1-line block ×15, first 2 shown]
	global_store_b32 v[2:3], v44, off
.LBB14_105:                             ;   in Loop: Header=BB14_99 Depth=1
	s_or_b32 exec_lo, exec_lo, s27
	s_waitcnt lgkmcnt(0)
	s_waitcnt_vscnt null, 0x0
	s_barrier
	buffer_gl0_inv
	s_and_saveexec_b32 s3, s2
	s_cbranch_execz .LBB14_98
; %bb.106:                              ;   in Loop: Header=BB14_99 Depth=1
	flat_load_b32 v44, v[4:5]
	s_waitcnt vmcnt(0) lgkmcnt(0)
	v_add_f32_e32 v23, v23, v44
	s_branch .LBB14_98
.LBB14_107:
	v_mov_b32_e32 v23, 0
.LBB14_108:
	v_cmp_gt_i64_e64 s3, s[30:31], 0
	v_cmp_eq_u32_e64 s2, 0, v18
	s_delay_alu instid0(VALU_DEP_1) | instskip(NEXT) | instid1(SALU_CYCLE_1)
	s_and_b32 s4, s2, s3
	s_and_saveexec_b32 s3, s4
	s_cbranch_execz .LBB14_114
; %bb.109:
	v_dual_mov_b32 v2, v16 :: v_dual_mov_b32 v3, v17
	s_mov_b32 s4, exec_lo
	v_cmpx_le_u64_e64 s[30:31], v[16:17]
	s_cbranch_execz .LBB14_111
; %bb.110:
	v_cvt_f32_u32_e32 v2, s30
	s_sub_i32 s5, 0, s30
	s_delay_alu instid0(VALU_DEP_1) | instskip(SKIP_2) | instid1(VALU_DEP_1)
	v_rcp_iflag_f32_e32 v2, v2
	s_waitcnt_depctr 0xfff
	v_mul_f32_e32 v2, 0x4f7ffffe, v2
	v_cvt_u32_f32_e32 v2, v2
	s_delay_alu instid0(VALU_DEP_1) | instskip(NEXT) | instid1(VALU_DEP_1)
	v_mul_lo_u32 v3, s5, v2
	v_mul_hi_u32 v3, v2, v3
	s_delay_alu instid0(VALU_DEP_1) | instskip(NEXT) | instid1(VALU_DEP_1)
	v_add_nc_u32_e32 v2, v2, v3
	v_mul_hi_u32 v2, v16, v2
	s_delay_alu instid0(VALU_DEP_1) | instskip(NEXT) | instid1(VALU_DEP_1)
	v_mul_lo_u32 v2, v2, s30
	v_sub_nc_u32_e32 v2, v16, v2
	s_delay_alu instid0(VALU_DEP_1) | instskip(SKIP_1) | instid1(VALU_DEP_2)
	v_subrev_nc_u32_e32 v3, s30, v2
	v_cmp_le_u32_e32 vcc_lo, s30, v2
	v_cndmask_b32_e32 v2, v2, v3, vcc_lo
	s_delay_alu instid0(VALU_DEP_1) | instskip(SKIP_1) | instid1(VALU_DEP_2)
	v_subrev_nc_u32_e32 v3, s30, v2
	v_cmp_le_u32_e32 vcc_lo, s30, v2
	v_dual_cndmask_b32 v2, v2, v3 :: v_dual_mov_b32 v3, 0
.LBB14_111:
	s_or_b32 exec_lo, exec_lo, s4
	v_cvt_f64_f32_e32 v[4:5], v23
	s_load_b64 s[0:1], s[0:1], 0x40
	s_waitcnt lgkmcnt(0)
	s_delay_alu instid0(VALU_DEP_1) | instskip(SKIP_1) | instid1(VALU_DEP_2)
	v_div_scale_f64 v[6:7], null, s[0:1], s[0:1], v[4:5]
	v_div_scale_f64 v[12:13], vcc_lo, v[4:5], s[0:1], v[4:5]
	v_rcp_f64_e32 v[8:9], v[6:7]
	s_waitcnt_depctr 0xfff
	v_fma_f64 v[10:11], -v[6:7], v[8:9], 1.0
	s_delay_alu instid0(VALU_DEP_1) | instskip(NEXT) | instid1(VALU_DEP_1)
	v_fma_f64 v[8:9], v[8:9], v[10:11], v[8:9]
	v_fma_f64 v[10:11], -v[6:7], v[8:9], 1.0
	s_delay_alu instid0(VALU_DEP_1) | instskip(NEXT) | instid1(VALU_DEP_1)
	v_fma_f64 v[8:9], v[8:9], v[10:11], v[8:9]
	v_mul_f64 v[10:11], v[12:13], v[8:9]
	s_delay_alu instid0(VALU_DEP_1) | instskip(NEXT) | instid1(VALU_DEP_1)
	v_fma_f64 v[6:7], -v[6:7], v[10:11], v[12:13]
	v_div_fmas_f64 v[6:7], v[6:7], v[8:9], v[10:11]
	v_add_nc_u32_e32 v11, 0x80, v2
	s_delay_alu instid0(VALU_DEP_2) | instskip(SKIP_2) | instid1(VALU_DEP_2)
	v_div_fixup_f64 v[4:5], v[6:7], s[0:1], v[4:5]
	v_mad_u64_u32 v[6:7], null, s26, v16, s[18:19]
	s_ashr_i32 s0, s26, 31
	v_cvt_f32_f64_e32 v8, v[4:5]
	s_delay_alu instid0(VALU_DEP_2) | instskip(NEXT) | instid1(VALU_DEP_1)
	v_mov_b32_e32 v4, v7
	v_mad_u64_u32 v[9:10], null, s0, v16, v[4:5]
	v_cmp_lt_u64_e64 s0, s[30:31], 2
	s_delay_alu instid0(VALU_DEP_2) | instskip(NEXT) | instid1(VALU_DEP_1)
	v_mov_b32_e32 v7, v9
	v_lshlrev_b64 v[4:5], 2, v[6:7]
	s_delay_alu instid0(VALU_DEP_1) | instskip(NEXT) | instid1(VALU_DEP_2)
	v_add_co_u32 v6, vcc_lo, s22, v4
	v_add_co_ci_u32_e32 v7, vcc_lo, s23, v5, vcc_lo
	v_add_co_u32 v9, vcc_lo, s20, v4
	v_add_co_ci_u32_e32 v10, vcc_lo, s21, v5, vcc_lo
	s_and_b32 vcc_lo, exec_lo, s0
	global_store_b32 v[6:7], v11, off
	global_store_b32 v[9:10], v8, off
	s_cbranch_vccnz .LBB14_114
; %bb.112:
	v_add_co_u32 v6, vcc_lo, v4, 4
	v_add_co_ci_u32_e32 v7, vcc_lo, 0, v5, vcc_lo
	s_mov_b64 s[0:1], 1
	s_delay_alu instid0(VALU_DEP_2) | instskip(NEXT) | instid1(VALU_DEP_2)
	v_add_co_u32 v4, vcc_lo, s20, v6
	v_add_co_ci_u32_e32 v5, vcc_lo, s21, v7, vcc_lo
	v_add_co_u32 v6, vcc_lo, s22, v6
	v_add_co_ci_u32_e32 v7, vcc_lo, s23, v7, vcc_lo
	.p2align	6
.LBB14_113:                             ; =>This Inner Loop Header: Depth=1
	s_delay_alu instid0(VALU_DEP_2)
	v_add_co_u32 v9, vcc_lo, v2, 1
	v_add_co_ci_u32_e32 v10, vcc_lo, 0, v3, vcc_lo
	v_add_nc_u32_e32 v2, 0x81, v2
	s_add_u32 s0, s0, 1
	global_store_b32 v[4:5], v8, off
	v_add_co_u32 v4, vcc_lo, v4, 4
	s_addc_u32 s1, s1, 0
	v_add_co_ci_u32_e32 v5, vcc_lo, 0, v5, vcc_lo
	v_cmp_lt_u64_e64 s4, s[0:1], s[30:31]
	global_store_b32 v[6:7], v2, off
	v_add_co_u32 v6, vcc_lo, v6, 4
	v_dual_mov_b32 v2, v9 :: v_dual_mov_b32 v3, v10
	v_add_co_ci_u32_e32 v7, vcc_lo, 0, v7, vcc_lo
	s_and_b32 vcc_lo, exec_lo, s4
	s_cbranch_vccnz .LBB14_113
.LBB14_114:
	s_or_b32 exec_lo, exec_lo, s3
	v_cmp_gt_i64_e64 s3, s[28:29], 0
	s_mov_b64 s[0:1], 0
	s_waitcnt lgkmcnt(0)
	s_waitcnt_vscnt null, 0x0
	s_barrier
	buffer_gl0_inv
	s_and_b32 s2, s2, s3
	s_delay_alu instid0(SALU_CYCLE_1)
	s_and_b32 exec_lo, exec_lo, s2
	s_cbranch_execz .LBB14_121
; %bb.115:
	v_mad_u64_u32 v[2:3], null, s26, v16, 0
	s_ashr_i32 s2, s26, 31
	s_delay_alu instid0(VALU_DEP_1) | instid1(SALU_CYCLE_1)
	v_mad_u64_u32 v[4:5], null, s2, v16, v[3:4]
	v_cmp_lt_u64_e64 s2, s[28:29], 8
	s_delay_alu instid0(VALU_DEP_2) | instskip(NEXT) | instid1(VALU_DEP_1)
	v_mov_b32_e32 v3, v4
	v_lshlrev_b64 v[2:3], 2, v[2:3]
	s_delay_alu instid0(VALU_DEP_1) | instskip(NEXT) | instid1(VALU_DEP_2)
	v_add_co_u32 v2, vcc_lo, s20, v2
	v_add_co_ci_u32_e32 v3, vcc_lo, s21, v3, vcc_lo
	s_and_b32 vcc_lo, exec_lo, s2
	s_cbranch_vccnz .LBB14_118
; %bb.116:
	s_and_b32 s1, s29, 0x7fffffff
	s_and_b32 s0, s28, -8
	s_mov_b64 s[2:3], 0
	s_mov_b64 s[4:5], s[0:1]
.LBB14_117:                             ; =>This Inner Loop Header: Depth=1
	v_add_co_u32 v4, vcc_lo, v0, s2
	v_add_co_ci_u32_e32 v5, vcc_lo, s3, v1, vcc_lo
	flat_load_b32 v8, v[4:5]
	s_waitcnt vmcnt(0) lgkmcnt(0)
	v_div_scale_f32 v6, null, v23, v23, v8
	v_div_scale_f32 v10, vcc_lo, v8, v23, v8
	s_delay_alu instid0(VALU_DEP_2) | instskip(SKIP_2) | instid1(VALU_DEP_1)
	v_rcp_f32_e32 v7, v6
	s_waitcnt_depctr 0xfff
	v_fma_f32 v9, -v6, v7, 1.0
	v_fmac_f32_e32 v7, v9, v7
	s_delay_alu instid0(VALU_DEP_1) | instskip(NEXT) | instid1(VALU_DEP_1)
	v_mul_f32_e32 v9, v10, v7
	v_fma_f32 v11, -v6, v9, v10
	s_delay_alu instid0(VALU_DEP_1) | instskip(NEXT) | instid1(VALU_DEP_1)
	v_fmac_f32_e32 v9, v11, v7
	v_fma_f32 v6, -v6, v9, v10
	s_delay_alu instid0(VALU_DEP_1) | instskip(SKIP_2) | instid1(VALU_DEP_3)
	v_div_fmas_f32 v9, v6, v7, v9
	v_add_co_u32 v6, vcc_lo, v2, s2
	v_add_co_ci_u32_e32 v7, vcc_lo, s3, v3, vcc_lo
	v_div_fixup_f32 v8, v9, v23, v8
	s_add_u32 s2, s2, 32
	s_addc_u32 s3, s3, 0
	s_add_u32 s4, s4, -8
	s_addc_u32 s5, s5, -1
	global_store_b32 v[6:7], v8, off
	flat_load_b32 v8, v[4:5] offset:4
	s_cmp_lg_u64 s[4:5], 0
	s_waitcnt vmcnt(0) lgkmcnt(0)
	v_div_scale_f32 v9, null, v23, v23, v8
	v_div_scale_f32 v12, vcc_lo, v8, v23, v8
	s_delay_alu instid0(VALU_DEP_2) | instskip(SKIP_2) | instid1(VALU_DEP_1)
	v_rcp_f32_e32 v10, v9
	s_waitcnt_depctr 0xfff
	v_fma_f32 v11, -v9, v10, 1.0
	v_fmac_f32_e32 v10, v11, v10
	s_delay_alu instid0(VALU_DEP_1) | instskip(NEXT) | instid1(VALU_DEP_1)
	v_mul_f32_e32 v11, v12, v10
	v_fma_f32 v13, -v9, v11, v12
	s_delay_alu instid0(VALU_DEP_1) | instskip(NEXT) | instid1(VALU_DEP_1)
	v_fmac_f32_e32 v11, v13, v10
	v_fma_f32 v9, -v9, v11, v12
	s_delay_alu instid0(VALU_DEP_1) | instskip(NEXT) | instid1(VALU_DEP_1)
	v_div_fmas_f32 v9, v9, v10, v11
	v_div_fixup_f32 v8, v9, v23, v8
	global_store_b32 v[6:7], v8, off offset:4
	flat_load_b32 v8, v[4:5] offset:8
	s_waitcnt vmcnt(0) lgkmcnt(0)
	v_div_scale_f32 v9, null, v23, v23, v8
	v_div_scale_f32 v12, vcc_lo, v8, v23, v8
	s_delay_alu instid0(VALU_DEP_2) | instskip(SKIP_2) | instid1(VALU_DEP_1)
	v_rcp_f32_e32 v10, v9
	s_waitcnt_depctr 0xfff
	v_fma_f32 v11, -v9, v10, 1.0
	v_fmac_f32_e32 v10, v11, v10
	s_delay_alu instid0(VALU_DEP_1) | instskip(NEXT) | instid1(VALU_DEP_1)
	v_mul_f32_e32 v11, v12, v10
	v_fma_f32 v13, -v9, v11, v12
	s_delay_alu instid0(VALU_DEP_1) | instskip(NEXT) | instid1(VALU_DEP_1)
	v_fmac_f32_e32 v11, v13, v10
	v_fma_f32 v9, -v9, v11, v12
	s_delay_alu instid0(VALU_DEP_1) | instskip(NEXT) | instid1(VALU_DEP_1)
	v_div_fmas_f32 v9, v9, v10, v11
	v_div_fixup_f32 v8, v9, v23, v8
	global_store_b32 v[6:7], v8, off offset:8
	flat_load_b32 v8, v[4:5] offset:12
	;; [unrolled: 19-line block ×6, first 2 shown]
	s_waitcnt vmcnt(0) lgkmcnt(0)
	v_div_scale_f32 v5, null, v23, v23, v4
	v_div_scale_f32 v10, vcc_lo, v4, v23, v4
	s_delay_alu instid0(VALU_DEP_2) | instskip(SKIP_2) | instid1(VALU_DEP_1)
	v_rcp_f32_e32 v8, v5
	s_waitcnt_depctr 0xfff
	v_fma_f32 v9, -v5, v8, 1.0
	v_fmac_f32_e32 v8, v9, v8
	s_delay_alu instid0(VALU_DEP_1) | instskip(NEXT) | instid1(VALU_DEP_1)
	v_mul_f32_e32 v9, v10, v8
	v_fma_f32 v11, -v5, v9, v10
	s_delay_alu instid0(VALU_DEP_1) | instskip(NEXT) | instid1(VALU_DEP_1)
	v_fmac_f32_e32 v9, v11, v8
	v_fma_f32 v5, -v5, v9, v10
	s_delay_alu instid0(VALU_DEP_1) | instskip(NEXT) | instid1(VALU_DEP_1)
	v_div_fmas_f32 v5, v5, v8, v9
	v_div_fixup_f32 v4, v5, v23, v4
	global_store_b32 v[6:7], v4, off offset:28
	s_cbranch_scc1 .LBB14_117
.LBB14_118:
	s_and_b32 s2, s28, 7
	s_mov_b32 s3, 0
	s_delay_alu instid0(SALU_CYCLE_1)
	s_cmp_eq_u64 s[2:3], 0
	s_cbranch_scc1 .LBB14_121
; %bb.119:
	s_mov_b64 s[4:5], s[2:3]
	s_set_inst_prefetch_distance 0x1
	.p2align	6
.LBB14_120:                             ; =>This Inner Loop Header: Depth=1
	s_lshl_b64 s[6:7], s[0:1], 2
	s_add_i32 s2, s0, 1
	v_add_co_u32 v4, vcc_lo, v0, s6
	v_add_co_ci_u32_e32 v5, vcc_lo, s7, v1, vcc_lo
	s_add_u32 s4, s4, -1
	s_addc_u32 s5, s5, -1
	s_mov_b64 s[0:1], s[2:3]
	flat_load_b32 v6, v[4:5]
	s_cmp_lg_u64 s[4:5], 0
	s_waitcnt vmcnt(0) lgkmcnt(0)
	v_div_scale_f32 v4, null, v23, v23, v6
	v_div_scale_f32 v8, vcc_lo, v6, v23, v6
	s_delay_alu instid0(VALU_DEP_2) | instskip(SKIP_2) | instid1(VALU_DEP_1)
	v_rcp_f32_e32 v5, v4
	s_waitcnt_depctr 0xfff
	v_fma_f32 v7, -v4, v5, 1.0
	v_fmac_f32_e32 v5, v7, v5
	s_delay_alu instid0(VALU_DEP_1) | instskip(NEXT) | instid1(VALU_DEP_1)
	v_mul_f32_e32 v7, v8, v5
	v_fma_f32 v9, -v4, v7, v8
	s_delay_alu instid0(VALU_DEP_1) | instskip(NEXT) | instid1(VALU_DEP_1)
	v_fmac_f32_e32 v7, v9, v5
	v_fma_f32 v4, -v4, v7, v8
	s_delay_alu instid0(VALU_DEP_1) | instskip(SKIP_2) | instid1(VALU_DEP_3)
	v_div_fmas_f32 v7, v4, v5, v7
	v_add_co_u32 v4, vcc_lo, v2, s6
	v_add_co_ci_u32_e32 v5, vcc_lo, s7, v3, vcc_lo
	v_div_fixup_f32 v6, v7, v23, v6
	global_store_b32 v[4:5], v6, off
	s_cbranch_scc1 .LBB14_120
.LBB14_121:
	s_set_inst_prefetch_distance 0x2
	s_nop 0
	s_sendmsg sendmsg(MSG_DEALLOC_VGPRS)
	s_endpgm
	.section	.rodata,"a",@progbits
	.p2align	6, 0x0
	.amdhsa_kernel _Z21moe_fused_gate_kernelIDF16_Li16ELi128ELi8ELi1EEvPvS0_PfPilllldi
		.amdhsa_group_segment_fixed_size 0
		.amdhsa_private_segment_fixed_size 0
		.amdhsa_kernarg_size 76
		.amdhsa_user_sgpr_count 15
		.amdhsa_user_sgpr_dispatch_ptr 0
		.amdhsa_user_sgpr_queue_ptr 0
		.amdhsa_user_sgpr_kernarg_segment_ptr 1
		.amdhsa_user_sgpr_dispatch_id 0
		.amdhsa_user_sgpr_private_segment_size 0
		.amdhsa_wavefront_size32 1
		.amdhsa_uses_dynamic_stack 0
		.amdhsa_enable_private_segment 0
		.amdhsa_system_sgpr_workgroup_id_x 1
		.amdhsa_system_sgpr_workgroup_id_y 0
		.amdhsa_system_sgpr_workgroup_id_z 0
		.amdhsa_system_sgpr_workgroup_info 0
		.amdhsa_system_vgpr_workitem_id 1
		.amdhsa_next_free_vgpr 49
		.amdhsa_next_free_sgpr 34
		.amdhsa_reserve_vcc 1
		.amdhsa_float_round_mode_32 0
		.amdhsa_float_round_mode_16_64 0
		.amdhsa_float_denorm_mode_32 3
		.amdhsa_float_denorm_mode_16_64 3
		.amdhsa_dx10_clamp 1
		.amdhsa_ieee_mode 1
		.amdhsa_fp16_overflow 0
		.amdhsa_workgroup_processor_mode 1
		.amdhsa_memory_ordered 1
		.amdhsa_forward_progress 0
		.amdhsa_shared_vgpr_count 0
		.amdhsa_exception_fp_ieee_invalid_op 0
		.amdhsa_exception_fp_denorm_src 0
		.amdhsa_exception_fp_ieee_div_zero 0
		.amdhsa_exception_fp_ieee_overflow 0
		.amdhsa_exception_fp_ieee_underflow 0
		.amdhsa_exception_fp_ieee_inexact 0
		.amdhsa_exception_int_div_zero 0
	.end_amdhsa_kernel
	.section	.text._Z21moe_fused_gate_kernelIDF16_Li16ELi128ELi8ELi1EEvPvS0_PfPilllldi,"axG",@progbits,_Z21moe_fused_gate_kernelIDF16_Li16ELi128ELi8ELi1EEvPvS0_PfPilllldi,comdat
.Lfunc_end14:
	.size	_Z21moe_fused_gate_kernelIDF16_Li16ELi128ELi8ELi1EEvPvS0_PfPilllldi, .Lfunc_end14-_Z21moe_fused_gate_kernelIDF16_Li16ELi128ELi8ELi1EEvPvS0_PfPilllldi
                                        ; -- End function
	.section	.AMDGPU.csdata,"",@progbits
; Kernel info:
; codeLenInByte = 8756
; NumSgprs: 36
; NumVgprs: 49
; ScratchSize: 0
; MemoryBound: 0
; FloatMode: 240
; IeeeMode: 1
; LDSByteSize: 0 bytes/workgroup (compile time only)
; SGPRBlocks: 4
; VGPRBlocks: 6
; NumSGPRsForWavesPerEU: 36
; NumVGPRsForWavesPerEU: 49
; Occupancy: 16
; WaveLimiterHint : 0
; COMPUTE_PGM_RSRC2:SCRATCH_EN: 0
; COMPUTE_PGM_RSRC2:USER_SGPR: 15
; COMPUTE_PGM_RSRC2:TRAP_HANDLER: 0
; COMPUTE_PGM_RSRC2:TGID_X_EN: 1
; COMPUTE_PGM_RSRC2:TGID_Y_EN: 0
; COMPUTE_PGM_RSRC2:TGID_Z_EN: 0
; COMPUTE_PGM_RSRC2:TIDIG_COMP_CNT: 1
	.section	.text._Z21moe_fused_gate_kernelIfLi16ELi128ELi8ELi1EEvPvS0_PfPilllldi,"axG",@progbits,_Z21moe_fused_gate_kernelIfLi16ELi128ELi8ELi1EEvPvS0_PfPilllldi,comdat
	.protected	_Z21moe_fused_gate_kernelIfLi16ELi128ELi8ELi1EEvPvS0_PfPilllldi ; -- Begin function _Z21moe_fused_gate_kernelIfLi16ELi128ELi8ELi1EEvPvS0_PfPilllldi
	.globl	_Z21moe_fused_gate_kernelIfLi16ELi128ELi8ELi1EEvPvS0_PfPilllldi
	.p2align	8
	.type	_Z21moe_fused_gate_kernelIfLi16ELi128ELi8ELi1EEvPvS0_PfPilllldi,@function
_Z21moe_fused_gate_kernelIfLi16ELi128ELi8ELi1EEvPvS0_PfPilllldi: ; @_Z21moe_fused_gate_kernelIfLi16ELi128ELi8ELi1EEvPvS0_PfPilllldi
; %bb.0:
	s_load_b512 s[16:31], s[0:1], 0x0
	v_bfe_u32 v1, v0, 10, 10
	v_dual_mov_b32 v35, 0 :: v_dual_and_b32 v0, 0x3ff, v0
	s_mov_b32 s2, exec_lo
	s_delay_alu instid0(VALU_DEP_2) | instskip(NEXT) | instid1(VALU_DEP_2)
	v_add_nc_u32_e32 v1, s15, v1
	v_lshrrev_b32_e32 v37, 3, v0
	s_delay_alu instid0(VALU_DEP_3) | instskip(NEXT) | instid1(VALU_DEP_2)
	v_mov_b32_e32 v33, v35
	v_lshl_add_u32 v32, v1, 2, v37
	s_waitcnt lgkmcnt(0)
	s_delay_alu instid0(VALU_DEP_1)
	v_cmpx_gt_i64_e64 s[24:25], v[32:33]
	s_cbranch_execz .LBB15_121
; %bb.1:
	v_and_b32_e32 v34, 7, v0
	v_lshlrev_b64 v[0:1], 9, v[32:33]
	s_mov_b32 s2, exec_lo
	s_delay_alu instid0(VALU_DEP_2) | instskip(NEXT) | instid1(VALU_DEP_2)
	v_lshlrev_b32_e32 v12, 6, v34
	v_add_co_u32 v0, vcc_lo, s16, v0
	s_delay_alu instid0(VALU_DEP_3) | instskip(NEXT) | instid1(VALU_DEP_2)
	v_add_co_ci_u32_e32 v1, vcc_lo, s17, v1, vcc_lo
	v_add_co_u32 v0, vcc_lo, v0, v12
	s_delay_alu instid0(VALU_DEP_2)
	v_add_co_ci_u32_e32 v1, vcc_lo, 0, v1, vcc_lo
	s_clause 0x3
	global_load_b128 v[24:27], v[0:1], off offset:16
	global_load_b128 v[28:31], v[0:1], off
	global_load_b128 v[16:19], v[0:1], off offset:48
	global_load_b128 v[20:23], v[0:1], off offset:32
	s_clause 0x3
	global_load_b128 v[0:3], v12, s[18:19] offset:48
	global_load_b128 v[4:7], v12, s[18:19] offset:32
	;; [unrolled: 1-line block ×3, first 2 shown]
	global_load_b128 v[12:15], v12, s[18:19]
	s_waitcnt vmcnt(6)
	v_cmpx_o_f32_e32 v28, v28
	s_cbranch_execz .LBB15_3
; %bb.2:
	v_mul_f32_e32 v35, 0xbfb8aa3b, v28
	v_cmp_nlt_f32_e32 vcc_lo, 0x42ce8ed0, v28
	s_delay_alu instid0(VALU_DEP_2) | instskip(SKIP_1) | instid1(VALU_DEP_1)
	v_rndne_f32_e32 v36, v35
	v_fma_f32 v38, 0xbfb8aa3b, v28, -v35
	v_dual_sub_f32 v35, v35, v36 :: v_dual_fmamk_f32 v38, v28, 0xb2a5705f, v38
	v_cvt_i32_f32_e32 v36, v36
	s_delay_alu instid0(VALU_DEP_2) | instskip(NEXT) | instid1(VALU_DEP_1)
	v_add_f32_e32 v35, v35, v38
	v_exp_f32_e32 v35, v35
	s_waitcnt_depctr 0xfff
	v_ldexp_f32 v35, v35, v36
	s_delay_alu instid0(VALU_DEP_1) | instskip(SKIP_1) | instid1(VALU_DEP_2)
	v_cndmask_b32_e32 v35, 0, v35, vcc_lo
	v_cmp_ngt_f32_e32 vcc_lo, 0xc2b17218, v28
	v_cndmask_b32_e32 v28, 0x7f800000, v35, vcc_lo
	s_delay_alu instid0(VALU_DEP_1) | instskip(NEXT) | instid1(VALU_DEP_1)
	v_add_f32_e32 v28, 1.0, v28
	v_div_scale_f32 v35, null, v28, v28, 1.0
	s_delay_alu instid0(VALU_DEP_1) | instskip(SKIP_2) | instid1(VALU_DEP_1)
	v_rcp_f32_e32 v36, v35
	s_waitcnt_depctr 0xfff
	v_fma_f32 v38, -v35, v36, 1.0
	v_fmac_f32_e32 v36, v38, v36
	v_div_scale_f32 v38, vcc_lo, 1.0, v28, 1.0
	s_delay_alu instid0(VALU_DEP_1) | instskip(NEXT) | instid1(VALU_DEP_1)
	v_mul_f32_e32 v39, v38, v36
	v_fma_f32 v40, -v35, v39, v38
	s_delay_alu instid0(VALU_DEP_1) | instskip(NEXT) | instid1(VALU_DEP_1)
	v_fmac_f32_e32 v39, v40, v36
	v_fma_f32 v35, -v35, v39, v38
	s_delay_alu instid0(VALU_DEP_1) | instskip(NEXT) | instid1(VALU_DEP_1)
	v_div_fmas_f32 v35, v35, v36, v39
	v_div_fixup_f32 v35, v35, v28, 1.0
.LBB15_3:
	s_or_b32 exec_lo, exec_lo, s2
	v_mov_b32_e32 v28, 0
	v_mov_b32_e32 v36, 0
	s_mov_b32 s2, exec_lo
	v_cmpx_o_f32_e32 v29, v29
	s_cbranch_execz .LBB15_5
; %bb.4:
	v_mul_f32_e32 v36, 0xbfb8aa3b, v29
	v_cmp_nlt_f32_e32 vcc_lo, 0x42ce8ed0, v29
	s_delay_alu instid0(VALU_DEP_2) | instskip(SKIP_1) | instid1(VALU_DEP_1)
	v_rndne_f32_e32 v38, v36
	v_fma_f32 v39, 0xbfb8aa3b, v29, -v36
	v_dual_sub_f32 v36, v36, v38 :: v_dual_fmamk_f32 v39, v29, 0xb2a5705f, v39
	v_cvt_i32_f32_e32 v38, v38
	s_delay_alu instid0(VALU_DEP_2) | instskip(NEXT) | instid1(VALU_DEP_1)
	v_add_f32_e32 v36, v36, v39
	v_exp_f32_e32 v36, v36
	s_waitcnt_depctr 0xfff
	v_ldexp_f32 v36, v36, v38
	s_delay_alu instid0(VALU_DEP_1) | instskip(SKIP_1) | instid1(VALU_DEP_2)
	v_cndmask_b32_e32 v36, 0, v36, vcc_lo
	v_cmp_ngt_f32_e32 vcc_lo, 0xc2b17218, v29
	v_cndmask_b32_e32 v29, 0x7f800000, v36, vcc_lo
	s_delay_alu instid0(VALU_DEP_1) | instskip(NEXT) | instid1(VALU_DEP_1)
	v_add_f32_e32 v29, 1.0, v29
	v_div_scale_f32 v36, null, v29, v29, 1.0
	s_delay_alu instid0(VALU_DEP_1) | instskip(SKIP_2) | instid1(VALU_DEP_1)
	v_rcp_f32_e32 v38, v36
	s_waitcnt_depctr 0xfff
	v_fma_f32 v39, -v36, v38, 1.0
	v_fmac_f32_e32 v38, v39, v38
	v_div_scale_f32 v39, vcc_lo, 1.0, v29, 1.0
	s_delay_alu instid0(VALU_DEP_1) | instskip(NEXT) | instid1(VALU_DEP_1)
	v_mul_f32_e32 v40, v39, v38
	v_fma_f32 v41, -v36, v40, v39
	s_delay_alu instid0(VALU_DEP_1) | instskip(NEXT) | instid1(VALU_DEP_1)
	v_fmac_f32_e32 v40, v41, v38
	v_fma_f32 v36, -v36, v40, v39
	s_delay_alu instid0(VALU_DEP_1) | instskip(NEXT) | instid1(VALU_DEP_1)
	v_div_fmas_f32 v36, v36, v38, v40
	v_div_fixup_f32 v36, v36, v29, 1.0
.LBB15_5:
	s_or_b32 exec_lo, exec_lo, s2
	s_delay_alu instid0(SALU_CYCLE_1)
	s_mov_b32 s2, exec_lo
	v_cmpx_o_f32_e32 v30, v30
	s_cbranch_execz .LBB15_7
; %bb.6:
	v_mul_f32_e32 v28, 0xbfb8aa3b, v30
	v_cmp_nlt_f32_e32 vcc_lo, 0x42ce8ed0, v30
	s_delay_alu instid0(VALU_DEP_2) | instskip(SKIP_1) | instid1(VALU_DEP_2)
	v_rndne_f32_e32 v29, v28
	v_fma_f32 v38, 0xbfb8aa3b, v30, -v28
	v_sub_f32_e32 v28, v28, v29
	s_delay_alu instid0(VALU_DEP_2) | instskip(SKIP_1) | instid1(VALU_DEP_2)
	v_fmamk_f32 v38, v30, 0xb2a5705f, v38
	v_cvt_i32_f32_e32 v29, v29
	v_add_f32_e32 v28, v28, v38
	s_delay_alu instid0(VALU_DEP_1) | instskip(SKIP_2) | instid1(VALU_DEP_1)
	v_exp_f32_e32 v28, v28
	s_waitcnt_depctr 0xfff
	v_ldexp_f32 v28, v28, v29
	v_cndmask_b32_e32 v28, 0, v28, vcc_lo
	v_cmp_ngt_f32_e32 vcc_lo, 0xc2b17218, v30
	s_delay_alu instid0(VALU_DEP_2) | instskip(NEXT) | instid1(VALU_DEP_1)
	v_cndmask_b32_e32 v28, 0x7f800000, v28, vcc_lo
	v_add_f32_e32 v28, 1.0, v28
	s_delay_alu instid0(VALU_DEP_1) | instskip(NEXT) | instid1(VALU_DEP_1)
	v_div_scale_f32 v29, null, v28, v28, 1.0
	v_rcp_f32_e32 v30, v29
	s_waitcnt_depctr 0xfff
	v_fma_f32 v38, -v29, v30, 1.0
	s_delay_alu instid0(VALU_DEP_1) | instskip(SKIP_1) | instid1(VALU_DEP_1)
	v_fmac_f32_e32 v30, v38, v30
	v_div_scale_f32 v38, vcc_lo, 1.0, v28, 1.0
	v_mul_f32_e32 v39, v38, v30
	s_delay_alu instid0(VALU_DEP_1) | instskip(NEXT) | instid1(VALU_DEP_1)
	v_fma_f32 v40, -v29, v39, v38
	v_fmac_f32_e32 v39, v40, v30
	s_delay_alu instid0(VALU_DEP_1) | instskip(NEXT) | instid1(VALU_DEP_1)
	v_fma_f32 v29, -v29, v39, v38
	v_div_fmas_f32 v29, v29, v30, v39
	s_delay_alu instid0(VALU_DEP_1)
	v_div_fixup_f32 v28, v29, v28, 1.0
.LBB15_7:
	s_or_b32 exec_lo, exec_lo, s2
	v_dual_mov_b32 v29, 0 :: v_dual_mov_b32 v30, 0
	s_mov_b32 s2, exec_lo
	v_cmpx_o_f32_e32 v31, v31
	s_cbranch_execz .LBB15_9
; %bb.8:
	v_mul_f32_e32 v30, 0xbfb8aa3b, v31
	v_cmp_nlt_f32_e32 vcc_lo, 0x42ce8ed0, v31
	s_delay_alu instid0(VALU_DEP_2) | instskip(SKIP_1) | instid1(VALU_DEP_1)
	v_rndne_f32_e32 v38, v30
	v_fma_f32 v39, 0xbfb8aa3b, v31, -v30
	v_dual_sub_f32 v30, v30, v38 :: v_dual_fmamk_f32 v39, v31, 0xb2a5705f, v39
	v_cvt_i32_f32_e32 v38, v38
	s_delay_alu instid0(VALU_DEP_2) | instskip(NEXT) | instid1(VALU_DEP_1)
	v_add_f32_e32 v30, v30, v39
	v_exp_f32_e32 v30, v30
	s_waitcnt_depctr 0xfff
	v_ldexp_f32 v30, v30, v38
	s_delay_alu instid0(VALU_DEP_1) | instskip(SKIP_1) | instid1(VALU_DEP_2)
	v_cndmask_b32_e32 v30, 0, v30, vcc_lo
	v_cmp_ngt_f32_e32 vcc_lo, 0xc2b17218, v31
	v_cndmask_b32_e32 v30, 0x7f800000, v30, vcc_lo
	s_delay_alu instid0(VALU_DEP_1) | instskip(NEXT) | instid1(VALU_DEP_1)
	v_add_f32_e32 v30, 1.0, v30
	v_div_scale_f32 v31, null, v30, v30, 1.0
	s_delay_alu instid0(VALU_DEP_1) | instskip(SKIP_2) | instid1(VALU_DEP_1)
	v_rcp_f32_e32 v38, v31
	s_waitcnt_depctr 0xfff
	v_fma_f32 v39, -v31, v38, 1.0
	v_fmac_f32_e32 v38, v39, v38
	v_div_scale_f32 v39, vcc_lo, 1.0, v30, 1.0
	s_delay_alu instid0(VALU_DEP_1) | instskip(NEXT) | instid1(VALU_DEP_1)
	v_mul_f32_e32 v40, v39, v38
	v_fma_f32 v41, -v31, v40, v39
	s_delay_alu instid0(VALU_DEP_1) | instskip(NEXT) | instid1(VALU_DEP_1)
	v_fmac_f32_e32 v40, v41, v38
	v_fma_f32 v31, -v31, v40, v39
	s_delay_alu instid0(VALU_DEP_1) | instskip(NEXT) | instid1(VALU_DEP_1)
	v_div_fmas_f32 v31, v31, v38, v40
	v_div_fixup_f32 v30, v31, v30, 1.0
.LBB15_9:
	s_or_b32 exec_lo, exec_lo, s2
	s_delay_alu instid0(SALU_CYCLE_1)
	s_mov_b32 s2, exec_lo
	v_cmpx_o_f32_e32 v24, v24
	s_cbranch_execz .LBB15_11
; %bb.10:
	v_mul_f32_e32 v29, 0xbfb8aa3b, v24
	v_cmp_nlt_f32_e32 vcc_lo, 0x42ce8ed0, v24
	s_delay_alu instid0(VALU_DEP_2) | instskip(SKIP_1) | instid1(VALU_DEP_1)
	v_rndne_f32_e32 v31, v29
	v_fma_f32 v38, 0xbfb8aa3b, v24, -v29
	v_dual_sub_f32 v29, v29, v31 :: v_dual_fmamk_f32 v38, v24, 0xb2a5705f, v38
	v_cvt_i32_f32_e32 v31, v31
	s_delay_alu instid0(VALU_DEP_2) | instskip(NEXT) | instid1(VALU_DEP_1)
	v_add_f32_e32 v29, v29, v38
	v_exp_f32_e32 v29, v29
	s_waitcnt_depctr 0xfff
	v_ldexp_f32 v29, v29, v31
	s_delay_alu instid0(VALU_DEP_1) | instskip(SKIP_1) | instid1(VALU_DEP_2)
	v_cndmask_b32_e32 v29, 0, v29, vcc_lo
	v_cmp_ngt_f32_e32 vcc_lo, 0xc2b17218, v24
	v_cndmask_b32_e32 v24, 0x7f800000, v29, vcc_lo
	s_delay_alu instid0(VALU_DEP_1) | instskip(NEXT) | instid1(VALU_DEP_1)
	v_add_f32_e32 v24, 1.0, v24
	v_div_scale_f32 v29, null, v24, v24, 1.0
	s_delay_alu instid0(VALU_DEP_1) | instskip(SKIP_2) | instid1(VALU_DEP_1)
	v_rcp_f32_e32 v31, v29
	s_waitcnt_depctr 0xfff
	v_fma_f32 v38, -v29, v31, 1.0
	v_fmac_f32_e32 v31, v38, v31
	v_div_scale_f32 v38, vcc_lo, 1.0, v24, 1.0
	s_delay_alu instid0(VALU_DEP_1) | instskip(NEXT) | instid1(VALU_DEP_1)
	v_mul_f32_e32 v39, v38, v31
	v_fma_f32 v40, -v29, v39, v38
	s_delay_alu instid0(VALU_DEP_1) | instskip(NEXT) | instid1(VALU_DEP_1)
	v_fmac_f32_e32 v39, v40, v31
	v_fma_f32 v29, -v29, v39, v38
	s_delay_alu instid0(VALU_DEP_1) | instskip(NEXT) | instid1(VALU_DEP_1)
	v_div_fmas_f32 v29, v29, v31, v39
	v_div_fixup_f32 v29, v29, v24, 1.0
.LBB15_11:
	s_or_b32 exec_lo, exec_lo, s2
	v_dual_mov_b32 v24, 0 :: v_dual_mov_b32 v31, 0
	s_mov_b32 s2, exec_lo
	v_cmpx_o_f32_e32 v25, v25
	s_cbranch_execz .LBB15_13
; %bb.12:
	v_mul_f32_e32 v31, 0xbfb8aa3b, v25
	v_cmp_nlt_f32_e32 vcc_lo, 0x42ce8ed0, v25
	s_delay_alu instid0(VALU_DEP_2) | instskip(SKIP_1) | instid1(VALU_DEP_2)
	v_rndne_f32_e32 v38, v31
	v_fma_f32 v39, 0xbfb8aa3b, v25, -v31
	v_sub_f32_e32 v31, v31, v38
	s_delay_alu instid0(VALU_DEP_2) | instskip(SKIP_1) | instid1(VALU_DEP_2)
	v_fmamk_f32 v39, v25, 0xb2a5705f, v39
	v_cvt_i32_f32_e32 v38, v38
	v_add_f32_e32 v31, v31, v39
	s_delay_alu instid0(VALU_DEP_1) | instskip(SKIP_2) | instid1(VALU_DEP_1)
	v_exp_f32_e32 v31, v31
	s_waitcnt_depctr 0xfff
	v_ldexp_f32 v31, v31, v38
	v_cndmask_b32_e32 v31, 0, v31, vcc_lo
	v_cmp_ngt_f32_e32 vcc_lo, 0xc2b17218, v25
	s_delay_alu instid0(VALU_DEP_2) | instskip(NEXT) | instid1(VALU_DEP_1)
	v_cndmask_b32_e32 v25, 0x7f800000, v31, vcc_lo
	v_add_f32_e32 v25, 1.0, v25
	s_delay_alu instid0(VALU_DEP_1) | instskip(NEXT) | instid1(VALU_DEP_1)
	v_div_scale_f32 v31, null, v25, v25, 1.0
	v_rcp_f32_e32 v38, v31
	s_waitcnt_depctr 0xfff
	v_fma_f32 v39, -v31, v38, 1.0
	s_delay_alu instid0(VALU_DEP_1) | instskip(SKIP_1) | instid1(VALU_DEP_1)
	v_fmac_f32_e32 v38, v39, v38
	v_div_scale_f32 v39, vcc_lo, 1.0, v25, 1.0
	v_mul_f32_e32 v40, v39, v38
	s_delay_alu instid0(VALU_DEP_1) | instskip(NEXT) | instid1(VALU_DEP_1)
	v_fma_f32 v41, -v31, v40, v39
	v_fmac_f32_e32 v40, v41, v38
	s_delay_alu instid0(VALU_DEP_1) | instskip(NEXT) | instid1(VALU_DEP_1)
	v_fma_f32 v31, -v31, v40, v39
	v_div_fmas_f32 v31, v31, v38, v40
	s_delay_alu instid0(VALU_DEP_1)
	v_div_fixup_f32 v31, v31, v25, 1.0
.LBB15_13:
	s_or_b32 exec_lo, exec_lo, s2
	s_delay_alu instid0(SALU_CYCLE_1)
	s_mov_b32 s2, exec_lo
	v_cmpx_o_f32_e32 v26, v26
	s_cbranch_execz .LBB15_15
; %bb.14:
	v_mul_f32_e32 v24, 0xbfb8aa3b, v26
	v_cmp_nlt_f32_e32 vcc_lo, 0x42ce8ed0, v26
	s_delay_alu instid0(VALU_DEP_2) | instskip(SKIP_1) | instid1(VALU_DEP_2)
	v_rndne_f32_e32 v25, v24
	v_fma_f32 v38, 0xbfb8aa3b, v26, -v24
	v_sub_f32_e32 v24, v24, v25
	s_delay_alu instid0(VALU_DEP_2) | instskip(SKIP_1) | instid1(VALU_DEP_2)
	v_fmamk_f32 v38, v26, 0xb2a5705f, v38
	v_cvt_i32_f32_e32 v25, v25
	v_add_f32_e32 v24, v24, v38
	s_delay_alu instid0(VALU_DEP_1) | instskip(SKIP_2) | instid1(VALU_DEP_1)
	v_exp_f32_e32 v24, v24
	s_waitcnt_depctr 0xfff
	v_ldexp_f32 v24, v24, v25
	v_cndmask_b32_e32 v24, 0, v24, vcc_lo
	v_cmp_ngt_f32_e32 vcc_lo, 0xc2b17218, v26
	s_delay_alu instid0(VALU_DEP_2) | instskip(NEXT) | instid1(VALU_DEP_1)
	v_cndmask_b32_e32 v24, 0x7f800000, v24, vcc_lo
	v_add_f32_e32 v24, 1.0, v24
	s_delay_alu instid0(VALU_DEP_1) | instskip(NEXT) | instid1(VALU_DEP_1)
	v_div_scale_f32 v25, null, v24, v24, 1.0
	v_rcp_f32_e32 v26, v25
	s_waitcnt_depctr 0xfff
	v_fma_f32 v38, -v25, v26, 1.0
	s_delay_alu instid0(VALU_DEP_1) | instskip(SKIP_1) | instid1(VALU_DEP_1)
	v_fmac_f32_e32 v26, v38, v26
	v_div_scale_f32 v38, vcc_lo, 1.0, v24, 1.0
	v_mul_f32_e32 v39, v38, v26
	s_delay_alu instid0(VALU_DEP_1) | instskip(NEXT) | instid1(VALU_DEP_1)
	v_fma_f32 v40, -v25, v39, v38
	v_fmac_f32_e32 v39, v40, v26
	s_delay_alu instid0(VALU_DEP_1) | instskip(NEXT) | instid1(VALU_DEP_1)
	v_fma_f32 v25, -v25, v39, v38
	v_div_fmas_f32 v25, v25, v26, v39
	s_delay_alu instid0(VALU_DEP_1)
	v_div_fixup_f32 v24, v25, v24, 1.0
.LBB15_15:
	s_or_b32 exec_lo, exec_lo, s2
	v_dual_mov_b32 v25, 0 :: v_dual_mov_b32 v26, 0
	s_mov_b32 s2, exec_lo
	v_cmpx_o_f32_e32 v27, v27
	s_cbranch_execz .LBB15_17
; %bb.16:
	v_mul_f32_e32 v26, 0xbfb8aa3b, v27
	v_cmp_nlt_f32_e32 vcc_lo, 0x42ce8ed0, v27
	s_delay_alu instid0(VALU_DEP_2) | instskip(SKIP_1) | instid1(VALU_DEP_1)
	v_rndne_f32_e32 v38, v26
	v_fma_f32 v39, 0xbfb8aa3b, v27, -v26
	v_dual_sub_f32 v26, v26, v38 :: v_dual_fmamk_f32 v39, v27, 0xb2a5705f, v39
	v_cvt_i32_f32_e32 v38, v38
	s_delay_alu instid0(VALU_DEP_2) | instskip(NEXT) | instid1(VALU_DEP_1)
	v_add_f32_e32 v26, v26, v39
	v_exp_f32_e32 v26, v26
	s_waitcnt_depctr 0xfff
	v_ldexp_f32 v26, v26, v38
	s_delay_alu instid0(VALU_DEP_1) | instskip(SKIP_1) | instid1(VALU_DEP_2)
	v_cndmask_b32_e32 v26, 0, v26, vcc_lo
	v_cmp_ngt_f32_e32 vcc_lo, 0xc2b17218, v27
	v_cndmask_b32_e32 v26, 0x7f800000, v26, vcc_lo
	s_delay_alu instid0(VALU_DEP_1) | instskip(NEXT) | instid1(VALU_DEP_1)
	v_add_f32_e32 v26, 1.0, v26
	v_div_scale_f32 v27, null, v26, v26, 1.0
	s_delay_alu instid0(VALU_DEP_1) | instskip(SKIP_2) | instid1(VALU_DEP_1)
	v_rcp_f32_e32 v38, v27
	s_waitcnt_depctr 0xfff
	v_fma_f32 v39, -v27, v38, 1.0
	v_fmac_f32_e32 v38, v39, v38
	v_div_scale_f32 v39, vcc_lo, 1.0, v26, 1.0
	s_delay_alu instid0(VALU_DEP_1) | instskip(NEXT) | instid1(VALU_DEP_1)
	v_mul_f32_e32 v40, v39, v38
	v_fma_f32 v41, -v27, v40, v39
	s_delay_alu instid0(VALU_DEP_1) | instskip(NEXT) | instid1(VALU_DEP_1)
	v_fmac_f32_e32 v40, v41, v38
	v_fma_f32 v27, -v27, v40, v39
	s_delay_alu instid0(VALU_DEP_1) | instskip(NEXT) | instid1(VALU_DEP_1)
	v_div_fmas_f32 v27, v27, v38, v40
	v_div_fixup_f32 v26, v27, v26, 1.0
.LBB15_17:
	s_or_b32 exec_lo, exec_lo, s2
	s_delay_alu instid0(SALU_CYCLE_1)
	s_mov_b32 s2, exec_lo
	s_waitcnt vmcnt(4)
	v_cmpx_o_f32_e32 v20, v20
	s_cbranch_execz .LBB15_19
; %bb.18:
	v_mul_f32_e32 v25, 0xbfb8aa3b, v20
	v_cmp_nlt_f32_e32 vcc_lo, 0x42ce8ed0, v20
	s_delay_alu instid0(VALU_DEP_2) | instskip(SKIP_1) | instid1(VALU_DEP_1)
	v_rndne_f32_e32 v27, v25
	v_fma_f32 v38, 0xbfb8aa3b, v20, -v25
	v_dual_sub_f32 v25, v25, v27 :: v_dual_fmamk_f32 v38, v20, 0xb2a5705f, v38
	v_cvt_i32_f32_e32 v27, v27
	s_delay_alu instid0(VALU_DEP_2) | instskip(NEXT) | instid1(VALU_DEP_1)
	v_add_f32_e32 v25, v25, v38
	v_exp_f32_e32 v25, v25
	s_waitcnt_depctr 0xfff
	v_ldexp_f32 v25, v25, v27
	s_delay_alu instid0(VALU_DEP_1) | instskip(SKIP_1) | instid1(VALU_DEP_2)
	v_cndmask_b32_e32 v25, 0, v25, vcc_lo
	v_cmp_ngt_f32_e32 vcc_lo, 0xc2b17218, v20
	v_cndmask_b32_e32 v20, 0x7f800000, v25, vcc_lo
	s_delay_alu instid0(VALU_DEP_1) | instskip(NEXT) | instid1(VALU_DEP_1)
	v_add_f32_e32 v20, 1.0, v20
	v_div_scale_f32 v25, null, v20, v20, 1.0
	s_delay_alu instid0(VALU_DEP_1) | instskip(SKIP_2) | instid1(VALU_DEP_1)
	v_rcp_f32_e32 v27, v25
	s_waitcnt_depctr 0xfff
	v_fma_f32 v38, -v25, v27, 1.0
	v_fmac_f32_e32 v27, v38, v27
	v_div_scale_f32 v38, vcc_lo, 1.0, v20, 1.0
	s_delay_alu instid0(VALU_DEP_1) | instskip(NEXT) | instid1(VALU_DEP_1)
	v_mul_f32_e32 v39, v38, v27
	v_fma_f32 v40, -v25, v39, v38
	s_delay_alu instid0(VALU_DEP_1) | instskip(NEXT) | instid1(VALU_DEP_1)
	v_fmac_f32_e32 v39, v40, v27
	v_fma_f32 v25, -v25, v39, v38
	s_delay_alu instid0(VALU_DEP_1) | instskip(NEXT) | instid1(VALU_DEP_1)
	v_div_fmas_f32 v25, v25, v27, v39
	v_div_fixup_f32 v25, v25, v20, 1.0
.LBB15_19:
	s_or_b32 exec_lo, exec_lo, s2
	v_dual_mov_b32 v20, 0 :: v_dual_mov_b32 v27, 0
	s_mov_b32 s2, exec_lo
	v_cmpx_o_f32_e32 v21, v21
	s_cbranch_execz .LBB15_21
; %bb.20:
	v_mul_f32_e32 v27, 0xbfb8aa3b, v21
	v_cmp_nlt_f32_e32 vcc_lo, 0x42ce8ed0, v21
	s_delay_alu instid0(VALU_DEP_2) | instskip(SKIP_1) | instid1(VALU_DEP_2)
	v_rndne_f32_e32 v38, v27
	v_fma_f32 v39, 0xbfb8aa3b, v21, -v27
	v_sub_f32_e32 v27, v27, v38
	s_delay_alu instid0(VALU_DEP_2) | instskip(SKIP_1) | instid1(VALU_DEP_2)
	v_fmamk_f32 v39, v21, 0xb2a5705f, v39
	v_cvt_i32_f32_e32 v38, v38
	v_add_f32_e32 v27, v27, v39
	s_delay_alu instid0(VALU_DEP_1) | instskip(SKIP_2) | instid1(VALU_DEP_1)
	v_exp_f32_e32 v27, v27
	s_waitcnt_depctr 0xfff
	v_ldexp_f32 v27, v27, v38
	v_cndmask_b32_e32 v27, 0, v27, vcc_lo
	v_cmp_ngt_f32_e32 vcc_lo, 0xc2b17218, v21
	s_delay_alu instid0(VALU_DEP_2) | instskip(NEXT) | instid1(VALU_DEP_1)
	v_cndmask_b32_e32 v21, 0x7f800000, v27, vcc_lo
	v_add_f32_e32 v21, 1.0, v21
	s_delay_alu instid0(VALU_DEP_1) | instskip(NEXT) | instid1(VALU_DEP_1)
	v_div_scale_f32 v27, null, v21, v21, 1.0
	v_rcp_f32_e32 v38, v27
	s_waitcnt_depctr 0xfff
	v_fma_f32 v39, -v27, v38, 1.0
	s_delay_alu instid0(VALU_DEP_1) | instskip(SKIP_1) | instid1(VALU_DEP_1)
	v_fmac_f32_e32 v38, v39, v38
	v_div_scale_f32 v39, vcc_lo, 1.0, v21, 1.0
	v_mul_f32_e32 v40, v39, v38
	s_delay_alu instid0(VALU_DEP_1) | instskip(NEXT) | instid1(VALU_DEP_1)
	v_fma_f32 v41, -v27, v40, v39
	v_fmac_f32_e32 v40, v41, v38
	s_delay_alu instid0(VALU_DEP_1) | instskip(NEXT) | instid1(VALU_DEP_1)
	v_fma_f32 v27, -v27, v40, v39
	v_div_fmas_f32 v27, v27, v38, v40
	s_delay_alu instid0(VALU_DEP_1)
	v_div_fixup_f32 v27, v27, v21, 1.0
.LBB15_21:
	s_or_b32 exec_lo, exec_lo, s2
	s_delay_alu instid0(SALU_CYCLE_1)
	s_mov_b32 s2, exec_lo
	v_cmpx_o_f32_e32 v22, v22
	s_cbranch_execz .LBB15_23
; %bb.22:
	v_mul_f32_e32 v20, 0xbfb8aa3b, v22
	v_cmp_nlt_f32_e32 vcc_lo, 0x42ce8ed0, v22
	s_delay_alu instid0(VALU_DEP_2) | instskip(SKIP_1) | instid1(VALU_DEP_2)
	v_rndne_f32_e32 v21, v20
	v_fma_f32 v38, 0xbfb8aa3b, v22, -v20
	v_sub_f32_e32 v20, v20, v21
	s_delay_alu instid0(VALU_DEP_2) | instskip(SKIP_1) | instid1(VALU_DEP_2)
	v_fmamk_f32 v38, v22, 0xb2a5705f, v38
	v_cvt_i32_f32_e32 v21, v21
	v_add_f32_e32 v20, v20, v38
	s_delay_alu instid0(VALU_DEP_1) | instskip(SKIP_2) | instid1(VALU_DEP_1)
	v_exp_f32_e32 v20, v20
	s_waitcnt_depctr 0xfff
	v_ldexp_f32 v20, v20, v21
	v_cndmask_b32_e32 v20, 0, v20, vcc_lo
	v_cmp_ngt_f32_e32 vcc_lo, 0xc2b17218, v22
	s_delay_alu instid0(VALU_DEP_2) | instskip(NEXT) | instid1(VALU_DEP_1)
	v_cndmask_b32_e32 v20, 0x7f800000, v20, vcc_lo
	v_add_f32_e32 v20, 1.0, v20
	s_delay_alu instid0(VALU_DEP_1) | instskip(NEXT) | instid1(VALU_DEP_1)
	v_div_scale_f32 v21, null, v20, v20, 1.0
	v_rcp_f32_e32 v22, v21
	s_waitcnt_depctr 0xfff
	v_fma_f32 v38, -v21, v22, 1.0
	s_delay_alu instid0(VALU_DEP_1) | instskip(SKIP_1) | instid1(VALU_DEP_1)
	v_fmac_f32_e32 v22, v38, v22
	v_div_scale_f32 v38, vcc_lo, 1.0, v20, 1.0
	v_mul_f32_e32 v39, v38, v22
	s_delay_alu instid0(VALU_DEP_1) | instskip(NEXT) | instid1(VALU_DEP_1)
	v_fma_f32 v40, -v21, v39, v38
	v_fmac_f32_e32 v39, v40, v22
	s_delay_alu instid0(VALU_DEP_1) | instskip(NEXT) | instid1(VALU_DEP_1)
	v_fma_f32 v21, -v21, v39, v38
	v_div_fmas_f32 v21, v21, v22, v39
	s_delay_alu instid0(VALU_DEP_1)
	v_div_fixup_f32 v20, v21, v20, 1.0
.LBB15_23:
	s_or_b32 exec_lo, exec_lo, s2
	v_dual_mov_b32 v21, 0 :: v_dual_mov_b32 v22, 0
	s_mov_b32 s2, exec_lo
	v_cmpx_o_f32_e32 v23, v23
	s_cbranch_execz .LBB15_25
; %bb.24:
	v_mul_f32_e32 v22, 0xbfb8aa3b, v23
	v_cmp_nlt_f32_e32 vcc_lo, 0x42ce8ed0, v23
	s_delay_alu instid0(VALU_DEP_2) | instskip(SKIP_1) | instid1(VALU_DEP_1)
	v_rndne_f32_e32 v38, v22
	v_fma_f32 v39, 0xbfb8aa3b, v23, -v22
	v_dual_sub_f32 v22, v22, v38 :: v_dual_fmamk_f32 v39, v23, 0xb2a5705f, v39
	v_cvt_i32_f32_e32 v38, v38
	s_delay_alu instid0(VALU_DEP_2) | instskip(NEXT) | instid1(VALU_DEP_1)
	v_add_f32_e32 v22, v22, v39
	v_exp_f32_e32 v22, v22
	s_waitcnt_depctr 0xfff
	v_ldexp_f32 v22, v22, v38
	s_delay_alu instid0(VALU_DEP_1) | instskip(SKIP_1) | instid1(VALU_DEP_2)
	v_cndmask_b32_e32 v22, 0, v22, vcc_lo
	v_cmp_ngt_f32_e32 vcc_lo, 0xc2b17218, v23
	v_cndmask_b32_e32 v22, 0x7f800000, v22, vcc_lo
	s_delay_alu instid0(VALU_DEP_1) | instskip(NEXT) | instid1(VALU_DEP_1)
	v_add_f32_e32 v22, 1.0, v22
	v_div_scale_f32 v23, null, v22, v22, 1.0
	s_delay_alu instid0(VALU_DEP_1) | instskip(SKIP_2) | instid1(VALU_DEP_1)
	v_rcp_f32_e32 v38, v23
	s_waitcnt_depctr 0xfff
	v_fma_f32 v39, -v23, v38, 1.0
	v_fmac_f32_e32 v38, v39, v38
	v_div_scale_f32 v39, vcc_lo, 1.0, v22, 1.0
	s_delay_alu instid0(VALU_DEP_1) | instskip(NEXT) | instid1(VALU_DEP_1)
	v_mul_f32_e32 v40, v39, v38
	v_fma_f32 v41, -v23, v40, v39
	s_delay_alu instid0(VALU_DEP_1) | instskip(NEXT) | instid1(VALU_DEP_1)
	v_fmac_f32_e32 v40, v41, v38
	v_fma_f32 v23, -v23, v40, v39
	s_delay_alu instid0(VALU_DEP_1) | instskip(NEXT) | instid1(VALU_DEP_1)
	v_div_fmas_f32 v23, v23, v38, v40
	v_div_fixup_f32 v22, v23, v22, 1.0
.LBB15_25:
	s_or_b32 exec_lo, exec_lo, s2
	s_delay_alu instid0(SALU_CYCLE_1)
	s_mov_b32 s2, exec_lo
	v_cmpx_o_f32_e32 v16, v16
	s_cbranch_execz .LBB15_27
; %bb.26:
	v_mul_f32_e32 v21, 0xbfb8aa3b, v16
	v_cmp_nlt_f32_e32 vcc_lo, 0x42ce8ed0, v16
	s_delay_alu instid0(VALU_DEP_2) | instskip(SKIP_1) | instid1(VALU_DEP_1)
	v_rndne_f32_e32 v23, v21
	v_fma_f32 v38, 0xbfb8aa3b, v16, -v21
	v_dual_sub_f32 v21, v21, v23 :: v_dual_fmamk_f32 v38, v16, 0xb2a5705f, v38
	v_cvt_i32_f32_e32 v23, v23
	s_delay_alu instid0(VALU_DEP_2) | instskip(NEXT) | instid1(VALU_DEP_1)
	v_add_f32_e32 v21, v21, v38
	v_exp_f32_e32 v21, v21
	s_waitcnt_depctr 0xfff
	v_ldexp_f32 v21, v21, v23
	s_delay_alu instid0(VALU_DEP_1) | instskip(SKIP_1) | instid1(VALU_DEP_2)
	v_cndmask_b32_e32 v21, 0, v21, vcc_lo
	v_cmp_ngt_f32_e32 vcc_lo, 0xc2b17218, v16
	v_cndmask_b32_e32 v16, 0x7f800000, v21, vcc_lo
	s_delay_alu instid0(VALU_DEP_1) | instskip(NEXT) | instid1(VALU_DEP_1)
	v_add_f32_e32 v16, 1.0, v16
	v_div_scale_f32 v21, null, v16, v16, 1.0
	s_delay_alu instid0(VALU_DEP_1) | instskip(SKIP_2) | instid1(VALU_DEP_1)
	v_rcp_f32_e32 v23, v21
	s_waitcnt_depctr 0xfff
	v_fma_f32 v38, -v21, v23, 1.0
	v_fmac_f32_e32 v23, v38, v23
	v_div_scale_f32 v38, vcc_lo, 1.0, v16, 1.0
	s_delay_alu instid0(VALU_DEP_1) | instskip(NEXT) | instid1(VALU_DEP_1)
	v_mul_f32_e32 v39, v38, v23
	v_fma_f32 v40, -v21, v39, v38
	s_delay_alu instid0(VALU_DEP_1) | instskip(NEXT) | instid1(VALU_DEP_1)
	v_fmac_f32_e32 v39, v40, v23
	v_fma_f32 v21, -v21, v39, v38
	s_delay_alu instid0(VALU_DEP_1) | instskip(NEXT) | instid1(VALU_DEP_1)
	v_div_fmas_f32 v21, v21, v23, v39
	v_div_fixup_f32 v21, v21, v16, 1.0
.LBB15_27:
	s_or_b32 exec_lo, exec_lo, s2
	v_dual_mov_b32 v16, 0 :: v_dual_mov_b32 v23, 0
	s_mov_b32 s2, exec_lo
	v_cmpx_o_f32_e32 v17, v17
	s_cbranch_execz .LBB15_29
; %bb.28:
	v_mul_f32_e32 v23, 0xbfb8aa3b, v17
	v_cmp_nlt_f32_e32 vcc_lo, 0x42ce8ed0, v17
	s_delay_alu instid0(VALU_DEP_2) | instskip(SKIP_1) | instid1(VALU_DEP_2)
	v_rndne_f32_e32 v38, v23
	v_fma_f32 v39, 0xbfb8aa3b, v17, -v23
	v_sub_f32_e32 v23, v23, v38
	s_delay_alu instid0(VALU_DEP_2) | instskip(SKIP_1) | instid1(VALU_DEP_2)
	v_fmamk_f32 v39, v17, 0xb2a5705f, v39
	v_cvt_i32_f32_e32 v38, v38
	v_add_f32_e32 v23, v23, v39
	s_delay_alu instid0(VALU_DEP_1) | instskip(SKIP_2) | instid1(VALU_DEP_1)
	v_exp_f32_e32 v23, v23
	s_waitcnt_depctr 0xfff
	v_ldexp_f32 v23, v23, v38
	v_cndmask_b32_e32 v23, 0, v23, vcc_lo
	v_cmp_ngt_f32_e32 vcc_lo, 0xc2b17218, v17
	s_delay_alu instid0(VALU_DEP_2) | instskip(NEXT) | instid1(VALU_DEP_1)
	v_cndmask_b32_e32 v17, 0x7f800000, v23, vcc_lo
	v_add_f32_e32 v17, 1.0, v17
	s_delay_alu instid0(VALU_DEP_1) | instskip(NEXT) | instid1(VALU_DEP_1)
	v_div_scale_f32 v23, null, v17, v17, 1.0
	v_rcp_f32_e32 v38, v23
	s_waitcnt_depctr 0xfff
	v_fma_f32 v39, -v23, v38, 1.0
	s_delay_alu instid0(VALU_DEP_1) | instskip(SKIP_1) | instid1(VALU_DEP_1)
	v_fmac_f32_e32 v38, v39, v38
	v_div_scale_f32 v39, vcc_lo, 1.0, v17, 1.0
	v_mul_f32_e32 v40, v39, v38
	s_delay_alu instid0(VALU_DEP_1) | instskip(NEXT) | instid1(VALU_DEP_1)
	v_fma_f32 v41, -v23, v40, v39
	v_fmac_f32_e32 v40, v41, v38
	s_delay_alu instid0(VALU_DEP_1) | instskip(NEXT) | instid1(VALU_DEP_1)
	v_fma_f32 v23, -v23, v40, v39
	v_div_fmas_f32 v23, v23, v38, v40
	s_delay_alu instid0(VALU_DEP_1)
	v_div_fixup_f32 v23, v23, v17, 1.0
.LBB15_29:
	s_or_b32 exec_lo, exec_lo, s2
	s_delay_alu instid0(SALU_CYCLE_1)
	s_mov_b32 s2, exec_lo
	v_cmpx_o_f32_e32 v18, v18
	s_cbranch_execz .LBB15_31
; %bb.30:
	v_mul_f32_e32 v16, 0xbfb8aa3b, v18
	v_cmp_nlt_f32_e32 vcc_lo, 0x42ce8ed0, v18
	s_delay_alu instid0(VALU_DEP_2) | instskip(SKIP_1) | instid1(VALU_DEP_2)
	v_rndne_f32_e32 v17, v16
	v_fma_f32 v38, 0xbfb8aa3b, v18, -v16
	v_sub_f32_e32 v16, v16, v17
	s_delay_alu instid0(VALU_DEP_2) | instskip(SKIP_1) | instid1(VALU_DEP_2)
	v_fmamk_f32 v38, v18, 0xb2a5705f, v38
	v_cvt_i32_f32_e32 v17, v17
	v_add_f32_e32 v16, v16, v38
	s_delay_alu instid0(VALU_DEP_1) | instskip(SKIP_2) | instid1(VALU_DEP_1)
	v_exp_f32_e32 v16, v16
	s_waitcnt_depctr 0xfff
	v_ldexp_f32 v16, v16, v17
	v_cndmask_b32_e32 v16, 0, v16, vcc_lo
	v_cmp_ngt_f32_e32 vcc_lo, 0xc2b17218, v18
	s_delay_alu instid0(VALU_DEP_2) | instskip(NEXT) | instid1(VALU_DEP_1)
	v_cndmask_b32_e32 v16, 0x7f800000, v16, vcc_lo
	v_add_f32_e32 v16, 1.0, v16
	s_delay_alu instid0(VALU_DEP_1) | instskip(NEXT) | instid1(VALU_DEP_1)
	v_div_scale_f32 v17, null, v16, v16, 1.0
	v_rcp_f32_e32 v18, v17
	s_waitcnt_depctr 0xfff
	v_fma_f32 v38, -v17, v18, 1.0
	s_delay_alu instid0(VALU_DEP_1) | instskip(SKIP_1) | instid1(VALU_DEP_1)
	v_fmac_f32_e32 v18, v38, v18
	v_div_scale_f32 v38, vcc_lo, 1.0, v16, 1.0
	v_mul_f32_e32 v39, v38, v18
	s_delay_alu instid0(VALU_DEP_1) | instskip(NEXT) | instid1(VALU_DEP_1)
	v_fma_f32 v40, -v17, v39, v38
	v_fmac_f32_e32 v39, v40, v18
	s_delay_alu instid0(VALU_DEP_1) | instskip(NEXT) | instid1(VALU_DEP_1)
	v_fma_f32 v17, -v17, v39, v38
	v_div_fmas_f32 v17, v17, v18, v39
	s_delay_alu instid0(VALU_DEP_1)
	v_div_fixup_f32 v16, v17, v16, 1.0
.LBB15_31:
	s_or_b32 exec_lo, exec_lo, s2
	v_mov_b32_e32 v17, 0
	s_mov_b32 s2, exec_lo
	v_cmpx_o_f32_e32 v19, v19
	s_cbranch_execz .LBB15_33
; %bb.32:
	v_mul_f32_e32 v17, 0xbfb8aa3b, v19
	v_cmp_nlt_f32_e32 vcc_lo, 0x42ce8ed0, v19
	s_delay_alu instid0(VALU_DEP_2) | instskip(SKIP_1) | instid1(VALU_DEP_1)
	v_rndne_f32_e32 v18, v17
	v_fma_f32 v38, 0xbfb8aa3b, v19, -v17
	v_dual_sub_f32 v17, v17, v18 :: v_dual_fmamk_f32 v38, v19, 0xb2a5705f, v38
	v_cvt_i32_f32_e32 v18, v18
	s_delay_alu instid0(VALU_DEP_2) | instskip(NEXT) | instid1(VALU_DEP_1)
	v_add_f32_e32 v17, v17, v38
	v_exp_f32_e32 v17, v17
	s_waitcnt_depctr 0xfff
	v_ldexp_f32 v17, v17, v18
	s_delay_alu instid0(VALU_DEP_1) | instskip(SKIP_1) | instid1(VALU_DEP_2)
	v_cndmask_b32_e32 v17, 0, v17, vcc_lo
	v_cmp_ngt_f32_e32 vcc_lo, 0xc2b17218, v19
	v_cndmask_b32_e32 v17, 0x7f800000, v17, vcc_lo
	s_delay_alu instid0(VALU_DEP_1) | instskip(NEXT) | instid1(VALU_DEP_1)
	v_add_f32_e32 v17, 1.0, v17
	v_div_scale_f32 v18, null, v17, v17, 1.0
	s_delay_alu instid0(VALU_DEP_1) | instskip(SKIP_2) | instid1(VALU_DEP_1)
	v_rcp_f32_e32 v19, v18
	s_waitcnt_depctr 0xfff
	v_fma_f32 v38, -v18, v19, 1.0
	v_fmac_f32_e32 v19, v38, v19
	v_div_scale_f32 v38, vcc_lo, 1.0, v17, 1.0
	s_delay_alu instid0(VALU_DEP_1) | instskip(NEXT) | instid1(VALU_DEP_1)
	v_mul_f32_e32 v39, v38, v19
	v_fma_f32 v40, -v18, v39, v38
	s_delay_alu instid0(VALU_DEP_1) | instskip(NEXT) | instid1(VALU_DEP_1)
	v_fmac_f32_e32 v39, v40, v19
	v_fma_f32 v18, -v18, v39, v38
	s_delay_alu instid0(VALU_DEP_1) | instskip(NEXT) | instid1(VALU_DEP_1)
	v_div_fmas_f32 v18, v18, v19, v39
	v_div_fixup_f32 v17, v18, v17, 1.0
.LBB15_33:
	s_or_b32 exec_lo, exec_lo, s2
	s_waitcnt vmcnt(0)
	v_dual_add_f32 v12, v12, v35 :: v_dual_add_f32 v13, v13, v36
	s_mov_b32 s2, exec_lo
	s_delay_alu instid0(VALU_DEP_1) | instskip(NEXT) | instid1(VALU_DEP_1)
	v_dual_max_f32 v19, 0xff7fffff, v12 :: v_dual_mov_b32 v38, v13
	v_mov_b32_e32 v18, v19
	v_cmpx_ngt_f32_e32 v13, v19
	s_cbranch_execz .LBB15_37
; %bb.34:
	v_mov_b32_e32 v18, 0xff7fffff
	s_mov_b32 s3, exec_lo
	v_cmpx_lt_f32_e32 0xff7fffff, v13
; %bb.35:
	v_mov_b32_e32 v18, v13
; %bb.36:
	s_or_b32 exec_lo, exec_lo, s3
	v_mov_b32_e32 v38, v19
.LBB15_37:
	s_or_b32 exec_lo, exec_lo, s2
	v_add_f32_e32 v14, v14, v28
	s_delay_alu instid0(VALU_DEP_2) | instskip(SKIP_1) | instid1(VALU_DEP_2)
	v_mov_b32_e32 v19, v38
	s_mov_b32 s2, exec_lo
	v_mov_b32_e32 v39, v14
	v_cmpx_ngt_f32_e32 v14, v38
	s_cbranch_execz .LBB15_41
; %bb.38:
	s_mov_b32 s3, exec_lo
	v_cmpx_gt_f32_e32 v14, v18
; %bb.39:
	v_mov_b32_e32 v18, v14
; %bb.40:
	s_or_b32 exec_lo, exec_lo, s3
	s_delay_alu instid0(VALU_DEP_1)
	v_mov_b32_e32 v19, v18
	v_mov_b32_e32 v39, v38
.LBB15_41:
	s_or_b32 exec_lo, exec_lo, s2
	v_add_f32_e32 v15, v15, v30
	s_delay_alu instid0(VALU_DEP_2) | instskip(SKIP_1) | instid1(VALU_DEP_2)
	v_mov_b32_e32 v18, v39
	s_mov_b32 s2, exec_lo
	v_mov_b32_e32 v38, v15
	v_cmpx_ngt_f32_e32 v15, v39
	s_cbranch_execz .LBB15_45
; %bb.42:
	s_mov_b32 s3, exec_lo
	v_cmpx_gt_f32_e32 v15, v19
; %bb.43:
	v_mov_b32_e32 v19, v15
; %bb.44:
	s_or_b32 exec_lo, exec_lo, s3
	s_delay_alu instid0(VALU_DEP_1)
	v_mov_b32_e32 v18, v19
	v_mov_b32_e32 v38, v39
.LBB15_45:
	s_or_b32 exec_lo, exec_lo, s2
	s_delay_alu instid0(VALU_DEP_1) | instskip(SKIP_1) | instid1(VALU_DEP_1)
	v_dual_add_f32 v8, v8, v29 :: v_dual_mov_b32 v19, v38
	s_mov_b32 s2, exec_lo
	v_mov_b32_e32 v39, v8
	v_cmpx_ngt_f32_e32 v8, v38
	s_cbranch_execz .LBB15_49
; %bb.46:
	s_mov_b32 s3, exec_lo
	v_cmpx_gt_f32_e32 v8, v18
; %bb.47:
	v_mov_b32_e32 v18, v8
; %bb.48:
	s_or_b32 exec_lo, exec_lo, s3
	s_delay_alu instid0(VALU_DEP_1)
	v_mov_b32_e32 v19, v18
	v_mov_b32_e32 v39, v38
.LBB15_49:
	s_or_b32 exec_lo, exec_lo, s2
	s_delay_alu instid0(VALU_DEP_1) | instskip(SKIP_1) | instid1(VALU_DEP_1)
	v_dual_add_f32 v9, v9, v31 :: v_dual_mov_b32 v38, v39
	s_mov_b32 s2, exec_lo
	v_mov_b32_e32 v40, v9
	v_cmpx_ngt_f32_e32 v9, v39
	s_cbranch_execz .LBB15_53
; %bb.50:
	s_mov_b32 s3, exec_lo
	v_cmpx_gt_f32_e32 v9, v19
; %bb.51:
	v_mov_b32_e32 v19, v9
; %bb.52:
	s_or_b32 exec_lo, exec_lo, s3
	s_delay_alu instid0(VALU_DEP_1)
	v_mov_b32_e32 v38, v19
	v_mov_b32_e32 v40, v39
.LBB15_53:
	s_or_b32 exec_lo, exec_lo, s2
	v_add_f32_e32 v18, v10, v24
	s_delay_alu instid0(VALU_DEP_2) | instskip(SKIP_1) | instid1(VALU_DEP_2)
	v_mov_b32_e32 v10, v40
	s_mov_b32 s2, exec_lo
	v_mov_b32_e32 v19, v18
	v_cmpx_ngt_f32_e32 v18, v40
	s_cbranch_execz .LBB15_57
; %bb.54:
	s_mov_b32 s3, exec_lo
	v_cmpx_gt_f32_e32 v18, v38
; %bb.55:
	v_mov_b32_e32 v38, v18
; %bb.56:
	s_or_b32 exec_lo, exec_lo, s3
	s_delay_alu instid0(VALU_DEP_1)
	v_dual_mov_b32 v10, v38 :: v_dual_mov_b32 v19, v40
.LBB15_57:
	s_or_b32 exec_lo, exec_lo, s2
	v_add_f32_e32 v11, v11, v26
	s_delay_alu instid0(VALU_DEP_2) | instskip(SKIP_1) | instid1(VALU_DEP_2)
	v_mov_b32_e32 v38, v19
	s_mov_b32 s2, exec_lo
	v_mov_b32_e32 v39, v11
	v_cmpx_ngt_f32_e32 v11, v19
	s_cbranch_execz .LBB15_61
; %bb.58:
	s_mov_b32 s3, exec_lo
	v_cmpx_gt_f32_e32 v11, v10
; %bb.59:
	v_mov_b32_e32 v10, v11
; %bb.60:
	s_or_b32 exec_lo, exec_lo, s3
	s_delay_alu instid0(VALU_DEP_1)
	v_dual_mov_b32 v38, v10 :: v_dual_mov_b32 v39, v19
.LBB15_61:
	s_or_b32 exec_lo, exec_lo, s2
	s_delay_alu instid0(VALU_DEP_1) | instskip(SKIP_1) | instid1(VALU_DEP_1)
	v_dual_add_f32 v19, v4, v25 :: v_dual_mov_b32 v4, v39
	s_mov_b32 s2, exec_lo
	v_mov_b32_e32 v10, v19
	v_cmpx_ngt_f32_e32 v19, v39
	s_cbranch_execz .LBB15_65
; %bb.62:
	s_mov_b32 s3, exec_lo
	v_cmpx_gt_f32_e32 v19, v38
; %bb.63:
	v_mov_b32_e32 v38, v19
; %bb.64:
	s_or_b32 exec_lo, exec_lo, s3
	s_delay_alu instid0(VALU_DEP_1)
	v_mov_b32_e32 v4, v38
	v_mov_b32_e32 v10, v39
.LBB15_65:
	s_or_b32 exec_lo, exec_lo, s2
	s_delay_alu instid0(VALU_DEP_1) | instskip(SKIP_1) | instid1(VALU_DEP_1)
	v_dual_add_f32 v38, v5, v27 :: v_dual_mov_b32 v5, v10
	s_mov_b32 s2, exec_lo
	v_mov_b32_e32 v39, v38
	v_cmpx_ngt_f32_e32 v38, v10
	s_cbranch_execz .LBB15_69
; %bb.66:
	s_mov_b32 s3, exec_lo
	v_cmpx_gt_f32_e32 v38, v4
; %bb.67:
	v_mov_b32_e32 v4, v38
; %bb.68:
	s_or_b32 exec_lo, exec_lo, s3
	s_delay_alu instid0(VALU_DEP_1)
	v_mov_b32_e32 v5, v4
	v_mov_b32_e32 v39, v10
.LBB15_69:
	s_or_b32 exec_lo, exec_lo, s2
	v_add_f32_e32 v6, v6, v20
	s_delay_alu instid0(VALU_DEP_2) | instskip(SKIP_1) | instid1(VALU_DEP_2)
	v_mov_b32_e32 v4, v39
	s_mov_b32 s2, exec_lo
	v_mov_b32_e32 v10, v6
	v_cmpx_ngt_f32_e32 v6, v39
	s_cbranch_execz .LBB15_73
; %bb.70:
	s_mov_b32 s3, exec_lo
	v_cmpx_gt_f32_e32 v6, v5
; %bb.71:
	v_mov_b32_e32 v5, v6
; %bb.72:
	s_or_b32 exec_lo, exec_lo, s3
	s_delay_alu instid0(VALU_DEP_1)
	v_mov_b32_e32 v4, v5
	v_mov_b32_e32 v10, v39
.LBB15_73:
	s_or_b32 exec_lo, exec_lo, s2
	v_add_f32_e32 v7, v7, v22
	s_delay_alu instid0(VALU_DEP_2) | instskip(SKIP_1) | instid1(VALU_DEP_2)
	v_mov_b32_e32 v5, v10
	s_mov_b32 s2, exec_lo
	v_mov_b32_e32 v40, v7
	v_cmpx_ngt_f32_e32 v7, v10
	s_cbranch_execz .LBB15_77
; %bb.74:
	s_mov_b32 s3, exec_lo
	v_cmpx_gt_f32_e32 v7, v4
; %bb.75:
	v_mov_b32_e32 v4, v7
; %bb.76:
	s_or_b32 exec_lo, exec_lo, s3
	s_delay_alu instid0(VALU_DEP_1)
	v_dual_mov_b32 v5, v4 :: v_dual_mov_b32 v40, v10
.LBB15_77:
	s_or_b32 exec_lo, exec_lo, s2
	v_add_f32_e32 v39, v0, v21
	s_delay_alu instid0(VALU_DEP_2) | instskip(SKIP_1) | instid1(VALU_DEP_2)
	v_mov_b32_e32 v0, v40
	s_mov_b32 s2, exec_lo
	v_mov_b32_e32 v4, v39
	v_cmpx_ngt_f32_e32 v39, v40
	s_cbranch_execz .LBB15_81
; %bb.78:
	s_mov_b32 s3, exec_lo
	v_cmpx_gt_f32_e32 v39, v5
; %bb.79:
	v_mov_b32_e32 v5, v39
; %bb.80:
	s_or_b32 exec_lo, exec_lo, s3
	s_delay_alu instid0(VALU_DEP_1)
	v_mov_b32_e32 v0, v5
	v_mov_b32_e32 v4, v40
.LBB15_81:
	s_or_b32 exec_lo, exec_lo, s2
	s_delay_alu instid0(VALU_DEP_1) | instskip(SKIP_1) | instid1(VALU_DEP_1)
	v_dual_add_f32 v40, v1, v23 :: v_dual_mov_b32 v1, v4
	s_mov_b32 s2, exec_lo
	v_mov_b32_e32 v5, v40
	v_cmpx_ngt_f32_e32 v40, v4
	s_cbranch_execz .LBB15_85
; %bb.82:
	s_mov_b32 s3, exec_lo
	v_cmpx_gt_f32_e32 v40, v0
; %bb.83:
	v_mov_b32_e32 v0, v40
; %bb.84:
	s_or_b32 exec_lo, exec_lo, s3
	s_delay_alu instid0(VALU_DEP_1)
	v_mov_b32_e32 v1, v0
	v_mov_b32_e32 v5, v4
.LBB15_85:
	s_or_b32 exec_lo, exec_lo, s2
	s_delay_alu instid0(VALU_DEP_1) | instskip(SKIP_1) | instid1(VALU_DEP_1)
	v_dual_add_f32 v41, v2, v16 :: v_dual_mov_b32 v0, v5
	s_mov_b32 s2, exec_lo
	v_mov_b32_e32 v2, v41
	v_cmpx_ngt_f32_e32 v41, v5
	s_cbranch_execz .LBB15_89
; %bb.86:
	s_mov_b32 s3, exec_lo
	v_cmpx_gt_f32_e32 v41, v1
; %bb.87:
	v_mov_b32_e32 v1, v41
; %bb.88:
	s_or_b32 exec_lo, exec_lo, s3
	s_delay_alu instid0(VALU_DEP_1)
	v_mov_b32_e32 v0, v1
	v_mov_b32_e32 v2, v5
.LBB15_89:
	s_or_b32 exec_lo, exec_lo, s2
	s_delay_alu instid0(VALU_DEP_1) | instskip(SKIP_1) | instid1(VALU_DEP_1)
	v_dual_add_f32 v42, v3, v17 :: v_dual_mov_b32 v1, v2
	s_mov_b32 s2, exec_lo
	v_mov_b32_e32 v3, v42
	v_cmpx_ngt_f32_e32 v42, v2
	s_cbranch_execz .LBB15_93
; %bb.90:
	s_mov_b32 s3, exec_lo
	v_cmpx_gt_f32_e32 v42, v0
; %bb.91:
	v_mov_b32_e32 v0, v42
; %bb.92:
	s_or_b32 exec_lo, exec_lo, s3
	s_delay_alu instid0(VALU_DEP_1)
	v_mov_b32_e32 v1, v0
	v_mov_b32_e32 v3, v2
.LBB15_93:
	s_or_b32 exec_lo, exec_lo, s2
	v_cmp_lt_i64_e64 s2, s[26:27], 8
	v_lshlrev_b32_e32 v43, 4, v34
	s_delay_alu instid0(VALU_DEP_2)
	s_and_b32 vcc_lo, exec_lo, s2
	s_cbranch_vccz .LBB15_96
; %bb.94:
	v_add_f32_e32 v0, v1, v3
	s_sub_u32 s4, 8, s26
	s_subb_u32 s5, 0, s27
	s_mov_b64 s[6:7], 0
.LBB15_95:                              ; =>This Inner Loop Header: Depth=1
	s_delay_alu instid0(VALU_DEP_1) | instskip(SKIP_1) | instid1(VALU_DEP_2)
	v_mov_b32_dpp v1, v0 quad_perm:[1,0,3,2] row_mask:0xf bank_mask:0xf
	v_mov_b32_dpp v2, v43 quad_perm:[1,0,3,2] row_mask:0xf bank_mask:0xf
	v_cmp_eq_f32_e32 vcc_lo, v0, v1
	s_delay_alu instid0(VALU_DEP_2) | instskip(SKIP_1) | instid1(VALU_DEP_2)
	v_cmp_lt_i32_e64 s2, v43, v2
	v_cmp_lt_f32_e64 s3, v0, v1
	s_and_b32 s2, s2, vcc_lo
	s_delay_alu instid0(VALU_DEP_1) | instid1(SALU_CYCLE_1)
	s_or_b32 vcc_lo, s3, s2
	v_dual_cndmask_b32 v1, v1, v0 :: v_dual_cndmask_b32 v2, v2, v43
	s_delay_alu instid0(VALU_DEP_1) | instskip(NEXT) | instid1(VALU_DEP_2)
	v_mov_b32_dpp v3, v1 quad_perm:[2,3,0,1] row_mask:0xf bank_mask:0xf
	v_mov_b32_dpp v4, v2 quad_perm:[2,3,0,1] row_mask:0xf bank_mask:0xf
	s_delay_alu instid0(VALU_DEP_2) | instskip(NEXT) | instid1(VALU_DEP_2)
	v_cmp_eq_f32_e32 vcc_lo, v1, v3
	v_cmp_lt_i32_e64 s2, v2, v4
	s_delay_alu instid0(VALU_DEP_1) | instskip(SKIP_2) | instid1(VALU_DEP_2)
	s_and_b32 vcc_lo, vcc_lo, s2
	v_cmp_lt_f32_e64 s2, v1, v3
	v_cndmask_b32_e32 v5, v3, v1, vcc_lo
	s_or_b32 vcc_lo, s2, vcc_lo
	s_add_u32 s6, s6, 1
	v_cndmask_b32_e32 v2, v4, v2, vcc_lo
	s_delay_alu instid0(VALU_DEP_2) | instskip(SKIP_1) | instid1(SALU_CYCLE_1)
	v_cndmask_b32_e64 v1, v5, v1, s2
	s_addc_u32 s7, s7, 0
	v_cmp_le_i64_e64 s2, s[4:5], s[6:7]
	s_delay_alu instid0(VALU_DEP_3) | instskip(NEXT) | instid1(VALU_DEP_3)
	v_mov_b32_dpp v3, v2 row_half_mirror row_mask:0xf bank_mask:0xf
	v_mov_b32_dpp v4, v1 row_half_mirror row_mask:0xf bank_mask:0xf
	s_delay_alu instid0(VALU_DEP_2) | instskip(NEXT) | instid1(VALU_DEP_2)
	v_min_i32_e32 v5, v2, v3
	v_cmp_eq_f32_e32 vcc_lo, v1, v4
	s_delay_alu instid0(VALU_DEP_2) | instskip(SKIP_1) | instid1(VALU_DEP_2)
	v_cndmask_b32_e32 v3, v3, v5, vcc_lo
	v_cmp_lt_f32_e32 vcc_lo, v1, v4
	v_cndmask_b32_e32 v1, v3, v2, vcc_lo
	s_delay_alu instid0(VALU_DEP_1) | instskip(NEXT) | instid1(VALU_DEP_1)
	v_ashrrev_i32_e32 v2, 31, v1
	v_lshrrev_b32_e32 v2, 28, v2
	s_delay_alu instid0(VALU_DEP_1) | instskip(NEXT) | instid1(VALU_DEP_1)
	v_add_nc_u32_e32 v1, v1, v2
	v_ashrrev_i32_e32 v1, 4, v1
	s_delay_alu instid0(VALU_DEP_1)
	v_cmp_eq_u32_e32 vcc_lo, v34, v1
	v_cndmask_b32_e64 v12, v12, 0x7f7fffff, vcc_lo
	v_cndmask_b32_e64 v0, v0, 0x7f7fffff, vcc_lo
	s_and_b32 vcc_lo, exec_lo, s2
	s_cbranch_vccz .LBB15_95
.LBB15_96:
	s_sub_u32 s18, s28, s30
	s_subb_u32 s19, s29, s31
	s_mov_b64 s[2:3], src_shared_base
	s_cmp_lg_u32 0, -1
	v_lshlrev_b32_e32 v4, 2, v37
	s_cselect_b32 s2, s3, 0
	s_cselect_b32 s3, 0, 0
	s_load_b32 s26, s[0:1], 0x48
	s_add_u32 s4, s3, 0xff
	s_addc_u32 s3, s2, 0
	s_and_b32 s2, s4, 0xffffff00
	s_delay_alu instid0(SALU_CYCLE_1) | instskip(SKIP_1) | instid1(VALU_DEP_1)
	v_mad_u64_u32 v[0:1], null, v4, s28, s[2:3]
	v_cmp_lt_i64_e64 s2, s[18:19], 1
	s_and_b32 vcc_lo, exec_lo, s2
	s_delay_alu instid0(VALU_DEP_2) | instskip(SKIP_1) | instid1(VALU_DEP_2)
	v_mad_u64_u32 v[2:3], null, v4, s29, v[1:2]
	v_cmp_eq_u32_e64 s2, 0, v34
	v_mov_b32_e32 v1, v2
	s_cbranch_vccnz .LBB15_107
; %bb.97:
	s_waitcnt lgkmcnt(0)
	v_mad_u64_u32 v[2:3], null, s26, v32, 0
	s_ashr_i32 s3, s26, 31
	v_mul_u32_u24_e32 v37, 16, v34
	s_mov_b64 s[24:25], 0
	v_mov_b32_e32 v10, 0
	s_delay_alu instid0(VALU_DEP_3) | instskip(NEXT) | instid1(VALU_DEP_1)
	v_mad_u64_u32 v[4:5], null, s3, v32, v[3:4]
	v_mov_b32_e32 v3, v4
	v_dual_mov_b32 v5, v1 :: v_dual_mov_b32 v4, v0
	s_delay_alu instid0(VALU_DEP_2) | instskip(NEXT) | instid1(VALU_DEP_1)
	v_lshlrev_b64 v[2:3], 2, v[2:3]
	v_add_co_u32 v2, vcc_lo, s22, v2
	s_delay_alu instid0(VALU_DEP_2)
	v_add_co_ci_u32_e32 v3, vcc_lo, s23, v3, vcc_lo
	s_branch .LBB15_99
.LBB15_98:                              ;   in Loop: Header=BB15_99 Depth=1
	s_or_b32 exec_lo, exec_lo, s3
	s_add_u32 s24, s24, 1
	s_addc_u32 s25, s25, 0
	v_add_co_u32 v2, vcc_lo, v2, 4
	v_cmp_le_i64_e64 s3, s[18:19], s[24:25]
	v_add_co_ci_u32_e32 v3, vcc_lo, 0, v3, vcc_lo
	v_add_co_u32 v4, vcc_lo, v4, 4
	v_add_co_ci_u32_e32 v5, vcc_lo, 0, v5, vcc_lo
	s_delay_alu instid0(VALU_DEP_4)
	s_and_b32 vcc_lo, exec_lo, s3
	s_cbranch_vccnz .LBB15_108
.LBB15_99:                              ; =>This Inner Loop Header: Depth=1
	v_dual_mov_b32 v44, 0xff7fffff :: v_dual_mov_b32 v45, v43
	s_mov_b32 s3, exec_lo
	v_cmpx_neq_f32_e32 0x7f7fffff, v12
	s_cbranch_execz .LBB15_101
; %bb.100:                              ;   in Loop: Header=BB15_99 Depth=1
	v_cmp_gt_f32_e32 vcc_lo, v13, v12
	v_cndmask_b32_e32 v44, v12, v13, vcc_lo
	v_cndmask_b32_e64 v45, 0, 1, vcc_lo
	s_delay_alu instid0(VALU_DEP_2) | instskip(SKIP_1) | instid1(VALU_DEP_3)
	v_cmp_gt_f32_e32 vcc_lo, v14, v44
	v_cndmask_b32_e32 v44, v44, v14, vcc_lo
	v_cndmask_b32_e64 v45, v45, 2, vcc_lo
	s_delay_alu instid0(VALU_DEP_2) | instskip(SKIP_1) | instid1(VALU_DEP_3)
	;; [unrolled: 4-line block ×13, first 2 shown]
	v_cmp_gt_f32_e32 vcc_lo, v41, v44
	v_cndmask_b32_e32 v44, v44, v41, vcc_lo
	v_cndmask_b32_e64 v45, v45, 14, vcc_lo
	s_delay_alu instid0(VALU_DEP_2) | instskip(NEXT) | instid1(VALU_DEP_2)
	v_cmp_gt_f32_e32 vcc_lo, v42, v44
	v_cndmask_b32_e64 v45, v45, 15, vcc_lo
	v_cndmask_b32_e32 v44, v44, v42, vcc_lo
	s_delay_alu instid0(VALU_DEP_2)
	v_or_b32_e32 v45, v45, v43
.LBB15_101:                             ;   in Loop: Header=BB15_99 Depth=1
	s_or_b32 exec_lo, exec_lo, s3
	s_delay_alu instid0(VALU_DEP_2) | instskip(NEXT) | instid1(VALU_DEP_2)
	v_mov_b32_dpp v46, v44 quad_perm:[1,0,3,2] row_mask:0xf bank_mask:0xf
	v_mov_b32_dpp v47, v45 quad_perm:[1,0,3,2] row_mask:0xf bank_mask:0xf
	s_mov_b32 s27, exec_lo
	s_delay_alu instid0(VALU_DEP_2) | instskip(NEXT) | instid1(VALU_DEP_2)
	v_cmp_eq_f32_e32 vcc_lo, v44, v46
	v_cmp_lt_i32_e64 s3, v45, v47
	v_cmp_gt_f32_e64 s4, v44, v46
	s_delay_alu instid0(VALU_DEP_2)
	s_and_b32 s3, vcc_lo, s3
	s_delay_alu instid0(VALU_DEP_1) | instid1(SALU_CYCLE_1)
	s_or_b32 vcc_lo, s4, s3
	v_dual_cndmask_b32 v44, v46, v44 :: v_dual_cndmask_b32 v45, v47, v45
	s_delay_alu instid0(VALU_DEP_1) | instskip(NEXT) | instid1(VALU_DEP_2)
	v_mov_b32_dpp v46, v44 quad_perm:[2,3,0,1] row_mask:0xf bank_mask:0xf
	v_mov_b32_dpp v47, v45 quad_perm:[2,3,0,1] row_mask:0xf bank_mask:0xf
	s_delay_alu instid0(VALU_DEP_2) | instskip(NEXT) | instid1(VALU_DEP_2)
	v_cmp_eq_f32_e32 vcc_lo, v44, v46
	v_cmp_lt_i32_e64 s3, v45, v47
	s_delay_alu instid0(VALU_DEP_1) | instskip(SKIP_2) | instid1(VALU_DEP_2)
	s_and_b32 vcc_lo, vcc_lo, s3
	v_cmp_gt_f32_e64 s3, v44, v46
	v_cndmask_b32_e32 v48, v46, v44, vcc_lo
	s_or_b32 vcc_lo, s3, vcc_lo
	v_cndmask_b32_e32 v45, v47, v45, vcc_lo
	s_delay_alu instid0(VALU_DEP_2) | instskip(NEXT) | instid1(VALU_DEP_2)
	v_cndmask_b32_e64 v44, v48, v44, s3
	v_mov_b32_dpp v46, v45 row_half_mirror row_mask:0xf bank_mask:0xf
	s_delay_alu instid0(VALU_DEP_2) | instskip(NEXT) | instid1(VALU_DEP_2)
	v_mov_b32_dpp v47, v44 row_half_mirror row_mask:0xf bank_mask:0xf
	v_min_i32_e32 v48, v45, v46
	s_delay_alu instid0(VALU_DEP_2) | instskip(NEXT) | instid1(VALU_DEP_2)
	v_cmp_eq_f32_e32 vcc_lo, v44, v47
	v_cndmask_b32_e32 v46, v46, v48, vcc_lo
	v_cmp_gt_f32_e32 vcc_lo, v44, v47
	s_delay_alu instid0(VALU_DEP_2) | instskip(NEXT) | instid1(VALU_DEP_1)
	v_cndmask_b32_e32 v44, v46, v45, vcc_lo
	v_ashrrev_i32_e32 v45, 31, v44
	s_delay_alu instid0(VALU_DEP_1) | instskip(NEXT) | instid1(VALU_DEP_1)
	v_lshrrev_b32_e32 v45, 28, v45
	v_add_nc_u32_e32 v45, v44, v45
	s_delay_alu instid0(VALU_DEP_1) | instskip(NEXT) | instid1(VALU_DEP_1)
	v_ashrrev_i32_e32 v45, 4, v45
	v_cmpx_eq_u32_e64 v34, v45
	s_cbranch_execz .LBB15_105
; %bb.102:                              ;   in Loop: Header=BB15_99 Depth=1
	v_sub_nc_u32_e32 v45, v44, v37
	s_mov_b32 s33, exec_lo
	s_delay_alu instid0(VALU_DEP_1)
	v_cmp_eq_u32_e32 vcc_lo, 1, v45
	v_cmp_eq_u32_e64 s3, 2, v45
	v_cmp_eq_u32_e64 s4, 3, v45
	;; [unrolled: 1-line block ×14, first 2 shown]
	v_cmpx_gt_u32_e32 16, v45
	s_cbranch_execz .LBB15_104
; %bb.103:                              ;   in Loop: Header=BB15_99 Depth=1
	v_cndmask_b32_e32 v46, v35, v36, vcc_lo
	s_delay_alu instid0(VALU_DEP_1) | instskip(NEXT) | instid1(VALU_DEP_1)
	v_cndmask_b32_e64 v46, v46, v28, s3
	v_cndmask_b32_e64 v46, v46, v30, s4
	s_delay_alu instid0(VALU_DEP_1) | instskip(NEXT) | instid1(VALU_DEP_1)
	v_cndmask_b32_e64 v46, v46, v29, s5
	v_cndmask_b32_e64 v46, v46, v31, s6
	;; [unrolled: 3-line block ×7, first 2 shown]
	flat_store_b32 v[4:5], v46
.LBB15_104:                             ;   in Loop: Header=BB15_99 Depth=1
	s_or_b32 exec_lo, exec_lo, s33
	v_cmp_ne_u32_e64 s17, 0, v45
	v_cndmask_b32_e64 v13, v13, 0xff7fffff, vcc_lo
	v_cndmask_b32_e64 v14, v14, 0xff7fffff, s3
	v_cndmask_b32_e64 v15, v15, 0xff7fffff, s4
	;; [unrolled: 1-line block ×15, first 2 shown]
	global_store_b32 v[2:3], v44, off
.LBB15_105:                             ;   in Loop: Header=BB15_99 Depth=1
	s_or_b32 exec_lo, exec_lo, s27
	s_waitcnt lgkmcnt(0)
	s_waitcnt_vscnt null, 0x0
	s_barrier
	buffer_gl0_inv
	s_and_saveexec_b32 s3, s2
	s_cbranch_execz .LBB15_98
; %bb.106:                              ;   in Loop: Header=BB15_99 Depth=1
	flat_load_b32 v44, v[4:5]
	s_waitcnt vmcnt(0) lgkmcnt(0)
	v_add_f32_e32 v10, v10, v44
	s_branch .LBB15_98
.LBB15_107:
	v_mov_b32_e32 v10, 0
.LBB15_108:
	v_cmp_gt_i64_e64 s3, s[30:31], 0
	v_cmp_eq_u32_e64 s2, 0, v34
	s_delay_alu instid0(VALU_DEP_1) | instskip(NEXT) | instid1(SALU_CYCLE_1)
	s_and_b32 s4, s2, s3
	s_and_saveexec_b32 s3, s4
	s_cbranch_execz .LBB15_114
; %bb.109:
	v_dual_mov_b32 v2, v32 :: v_dual_mov_b32 v3, v33
	s_mov_b32 s4, exec_lo
	v_cmpx_le_u64_e64 s[30:31], v[32:33]
	s_cbranch_execz .LBB15_111
; %bb.110:
	v_cvt_f32_u32_e32 v2, s30
	s_sub_i32 s5, 0, s30
	s_delay_alu instid0(VALU_DEP_1) | instskip(SKIP_2) | instid1(VALU_DEP_1)
	v_rcp_iflag_f32_e32 v2, v2
	s_waitcnt_depctr 0xfff
	v_mul_f32_e32 v2, 0x4f7ffffe, v2
	v_cvt_u32_f32_e32 v2, v2
	s_delay_alu instid0(VALU_DEP_1) | instskip(NEXT) | instid1(VALU_DEP_1)
	v_mul_lo_u32 v3, s5, v2
	v_mul_hi_u32 v3, v2, v3
	s_delay_alu instid0(VALU_DEP_1) | instskip(NEXT) | instid1(VALU_DEP_1)
	v_add_nc_u32_e32 v2, v2, v3
	v_mul_hi_u32 v2, v32, v2
	s_delay_alu instid0(VALU_DEP_1) | instskip(NEXT) | instid1(VALU_DEP_1)
	v_mul_lo_u32 v2, v2, s30
	v_sub_nc_u32_e32 v2, v32, v2
	s_delay_alu instid0(VALU_DEP_1) | instskip(SKIP_1) | instid1(VALU_DEP_2)
	v_subrev_nc_u32_e32 v3, s30, v2
	v_cmp_le_u32_e32 vcc_lo, s30, v2
	v_cndmask_b32_e32 v2, v2, v3, vcc_lo
	s_delay_alu instid0(VALU_DEP_1) | instskip(SKIP_1) | instid1(VALU_DEP_2)
	v_subrev_nc_u32_e32 v3, s30, v2
	v_cmp_le_u32_e32 vcc_lo, s30, v2
	v_dual_cndmask_b32 v2, v2, v3 :: v_dual_mov_b32 v3, 0
.LBB15_111:
	s_or_b32 exec_lo, exec_lo, s4
	v_cvt_f64_f32_e32 v[4:5], v10
	s_load_b64 s[0:1], s[0:1], 0x40
	s_waitcnt lgkmcnt(0)
	s_delay_alu instid0(VALU_DEP_1) | instskip(SKIP_1) | instid1(VALU_DEP_2)
	v_div_scale_f64 v[6:7], null, s[0:1], s[0:1], v[4:5]
	v_div_scale_f64 v[13:14], vcc_lo, v[4:5], s[0:1], v[4:5]
	v_rcp_f64_e32 v[8:9], v[6:7]
	s_waitcnt_depctr 0xfff
	v_fma_f64 v[11:12], -v[6:7], v[8:9], 1.0
	s_delay_alu instid0(VALU_DEP_1) | instskip(NEXT) | instid1(VALU_DEP_1)
	v_fma_f64 v[8:9], v[8:9], v[11:12], v[8:9]
	v_fma_f64 v[11:12], -v[6:7], v[8:9], 1.0
	s_delay_alu instid0(VALU_DEP_1) | instskip(NEXT) | instid1(VALU_DEP_1)
	v_fma_f64 v[8:9], v[8:9], v[11:12], v[8:9]
	v_mul_f64 v[11:12], v[13:14], v[8:9]
	s_delay_alu instid0(VALU_DEP_1) | instskip(NEXT) | instid1(VALU_DEP_1)
	v_fma_f64 v[6:7], -v[6:7], v[11:12], v[13:14]
	v_div_fmas_f64 v[6:7], v[6:7], v[8:9], v[11:12]
	v_add_nc_u32_e32 v9, 0x80, v2
	s_delay_alu instid0(VALU_DEP_2) | instskip(SKIP_2) | instid1(VALU_DEP_2)
	v_div_fixup_f64 v[4:5], v[6:7], s[0:1], v[4:5]
	v_mad_u64_u32 v[6:7], null, s26, v32, s[18:19]
	s_ashr_i32 s0, s26, 31
	v_cvt_f32_f64_e32 v8, v[4:5]
	s_delay_alu instid0(VALU_DEP_2) | instskip(NEXT) | instid1(VALU_DEP_1)
	v_mov_b32_e32 v4, v7
	v_mad_u64_u32 v[11:12], null, s0, v32, v[4:5]
	v_cmp_lt_u64_e64 s0, s[30:31], 2
	s_delay_alu instid0(VALU_DEP_2) | instskip(NEXT) | instid1(VALU_DEP_1)
	v_mov_b32_e32 v7, v11
	v_lshlrev_b64 v[4:5], 2, v[6:7]
	s_delay_alu instid0(VALU_DEP_1) | instskip(NEXT) | instid1(VALU_DEP_2)
	v_add_co_u32 v6, vcc_lo, s22, v4
	v_add_co_ci_u32_e32 v7, vcc_lo, s23, v5, vcc_lo
	v_add_co_u32 v11, vcc_lo, s20, v4
	v_add_co_ci_u32_e32 v12, vcc_lo, s21, v5, vcc_lo
	s_and_b32 vcc_lo, exec_lo, s0
	global_store_b32 v[6:7], v9, off
	global_store_b32 v[11:12], v8, off
	s_cbranch_vccnz .LBB15_114
; %bb.112:
	v_add_co_u32 v6, vcc_lo, v4, 4
	v_add_co_ci_u32_e32 v7, vcc_lo, 0, v5, vcc_lo
	s_mov_b64 s[0:1], 1
	s_delay_alu instid0(VALU_DEP_2) | instskip(NEXT) | instid1(VALU_DEP_2)
	v_add_co_u32 v4, vcc_lo, s20, v6
	v_add_co_ci_u32_e32 v5, vcc_lo, s21, v7, vcc_lo
	v_add_co_u32 v6, vcc_lo, s22, v6
	v_add_co_ci_u32_e32 v7, vcc_lo, s23, v7, vcc_lo
	.p2align	6
.LBB15_113:                             ; =>This Inner Loop Header: Depth=1
	s_delay_alu instid0(VALU_DEP_2)
	v_add_co_u32 v11, vcc_lo, v2, 1
	v_add_co_ci_u32_e32 v12, vcc_lo, 0, v3, vcc_lo
	v_add_nc_u32_e32 v2, 0x81, v2
	s_add_u32 s0, s0, 1
	global_store_b32 v[4:5], v8, off
	v_add_co_u32 v4, vcc_lo, v4, 4
	s_addc_u32 s1, s1, 0
	v_add_co_ci_u32_e32 v5, vcc_lo, 0, v5, vcc_lo
	v_cmp_lt_u64_e64 s4, s[0:1], s[30:31]
	global_store_b32 v[6:7], v2, off
	v_add_co_u32 v6, vcc_lo, v6, 4
	v_dual_mov_b32 v2, v11 :: v_dual_mov_b32 v3, v12
	v_add_co_ci_u32_e32 v7, vcc_lo, 0, v7, vcc_lo
	s_and_b32 vcc_lo, exec_lo, s4
	s_cbranch_vccnz .LBB15_113
.LBB15_114:
	s_or_b32 exec_lo, exec_lo, s3
	v_cmp_gt_i64_e64 s3, s[28:29], 0
	s_mov_b64 s[0:1], 0
	s_waitcnt lgkmcnt(0)
	s_waitcnt_vscnt null, 0x0
	s_barrier
	buffer_gl0_inv
	s_and_b32 s2, s2, s3
	s_delay_alu instid0(SALU_CYCLE_1)
	s_and_b32 exec_lo, exec_lo, s2
	s_cbranch_execz .LBB15_121
; %bb.115:
	v_mad_u64_u32 v[2:3], null, s26, v32, 0
	s_ashr_i32 s2, s26, 31
	s_delay_alu instid0(VALU_DEP_1) | instid1(SALU_CYCLE_1)
	v_mad_u64_u32 v[4:5], null, s2, v32, v[3:4]
	v_cmp_lt_u64_e64 s2, s[28:29], 8
	s_delay_alu instid0(VALU_DEP_2) | instskip(NEXT) | instid1(VALU_DEP_1)
	v_mov_b32_e32 v3, v4
	v_lshlrev_b64 v[2:3], 2, v[2:3]
	s_delay_alu instid0(VALU_DEP_1) | instskip(NEXT) | instid1(VALU_DEP_2)
	v_add_co_u32 v2, vcc_lo, s20, v2
	v_add_co_ci_u32_e32 v3, vcc_lo, s21, v3, vcc_lo
	s_and_b32 vcc_lo, exec_lo, s2
	s_cbranch_vccnz .LBB15_118
; %bb.116:
	s_and_b32 s1, s29, 0x7fffffff
	s_and_b32 s0, s28, -8
	s_mov_b64 s[2:3], 0
	s_mov_b64 s[4:5], s[0:1]
.LBB15_117:                             ; =>This Inner Loop Header: Depth=1
	v_add_co_u32 v4, vcc_lo, v0, s2
	v_add_co_ci_u32_e32 v5, vcc_lo, s3, v1, vcc_lo
	flat_load_b32 v8, v[4:5]
	s_waitcnt vmcnt(0) lgkmcnt(0)
	v_div_scale_f32 v6, null, v10, v10, v8
	v_div_scale_f32 v11, vcc_lo, v8, v10, v8
	s_delay_alu instid0(VALU_DEP_2) | instskip(SKIP_2) | instid1(VALU_DEP_1)
	v_rcp_f32_e32 v7, v6
	s_waitcnt_depctr 0xfff
	v_fma_f32 v9, -v6, v7, 1.0
	v_fmac_f32_e32 v7, v9, v7
	s_delay_alu instid0(VALU_DEP_1) | instskip(NEXT) | instid1(VALU_DEP_1)
	v_mul_f32_e32 v9, v11, v7
	v_fma_f32 v12, -v6, v9, v11
	s_delay_alu instid0(VALU_DEP_1) | instskip(NEXT) | instid1(VALU_DEP_1)
	v_fmac_f32_e32 v9, v12, v7
	v_fma_f32 v6, -v6, v9, v11
	s_delay_alu instid0(VALU_DEP_1) | instskip(SKIP_2) | instid1(VALU_DEP_3)
	v_div_fmas_f32 v9, v6, v7, v9
	v_add_co_u32 v6, vcc_lo, v2, s2
	v_add_co_ci_u32_e32 v7, vcc_lo, s3, v3, vcc_lo
	v_div_fixup_f32 v8, v9, v10, v8
	s_add_u32 s2, s2, 32
	s_addc_u32 s3, s3, 0
	s_add_u32 s4, s4, -8
	s_addc_u32 s5, s5, -1
	global_store_b32 v[6:7], v8, off
	flat_load_b32 v8, v[4:5] offset:4
	s_cmp_lg_u64 s[4:5], 0
	s_waitcnt vmcnt(0) lgkmcnt(0)
	v_div_scale_f32 v9, null, v10, v10, v8
	v_div_scale_f32 v13, vcc_lo, v8, v10, v8
	s_delay_alu instid0(VALU_DEP_2) | instskip(SKIP_2) | instid1(VALU_DEP_1)
	v_rcp_f32_e32 v11, v9
	s_waitcnt_depctr 0xfff
	v_fma_f32 v12, -v9, v11, 1.0
	v_fmac_f32_e32 v11, v12, v11
	s_delay_alu instid0(VALU_DEP_1) | instskip(NEXT) | instid1(VALU_DEP_1)
	v_mul_f32_e32 v12, v13, v11
	v_fma_f32 v14, -v9, v12, v13
	s_delay_alu instid0(VALU_DEP_1) | instskip(NEXT) | instid1(VALU_DEP_1)
	v_fmac_f32_e32 v12, v14, v11
	v_fma_f32 v9, -v9, v12, v13
	s_delay_alu instid0(VALU_DEP_1) | instskip(NEXT) | instid1(VALU_DEP_1)
	v_div_fmas_f32 v9, v9, v11, v12
	v_div_fixup_f32 v8, v9, v10, v8
	global_store_b32 v[6:7], v8, off offset:4
	flat_load_b32 v8, v[4:5] offset:8
	s_waitcnt vmcnt(0) lgkmcnt(0)
	v_div_scale_f32 v9, null, v10, v10, v8
	v_div_scale_f32 v13, vcc_lo, v8, v10, v8
	s_delay_alu instid0(VALU_DEP_2) | instskip(SKIP_2) | instid1(VALU_DEP_1)
	v_rcp_f32_e32 v11, v9
	s_waitcnt_depctr 0xfff
	v_fma_f32 v12, -v9, v11, 1.0
	v_fmac_f32_e32 v11, v12, v11
	s_delay_alu instid0(VALU_DEP_1) | instskip(NEXT) | instid1(VALU_DEP_1)
	v_mul_f32_e32 v12, v13, v11
	v_fma_f32 v14, -v9, v12, v13
	s_delay_alu instid0(VALU_DEP_1) | instskip(NEXT) | instid1(VALU_DEP_1)
	v_fmac_f32_e32 v12, v14, v11
	v_fma_f32 v9, -v9, v12, v13
	s_delay_alu instid0(VALU_DEP_1) | instskip(NEXT) | instid1(VALU_DEP_1)
	v_div_fmas_f32 v9, v9, v11, v12
	v_div_fixup_f32 v8, v9, v10, v8
	global_store_b32 v[6:7], v8, off offset:8
	flat_load_b32 v8, v[4:5] offset:12
	;; [unrolled: 19-line block ×6, first 2 shown]
	s_waitcnt vmcnt(0) lgkmcnt(0)
	v_div_scale_f32 v5, null, v10, v10, v4
	v_div_scale_f32 v11, vcc_lo, v4, v10, v4
	s_delay_alu instid0(VALU_DEP_2) | instskip(SKIP_2) | instid1(VALU_DEP_1)
	v_rcp_f32_e32 v8, v5
	s_waitcnt_depctr 0xfff
	v_fma_f32 v9, -v5, v8, 1.0
	v_fmac_f32_e32 v8, v9, v8
	s_delay_alu instid0(VALU_DEP_1) | instskip(NEXT) | instid1(VALU_DEP_1)
	v_mul_f32_e32 v9, v11, v8
	v_fma_f32 v12, -v5, v9, v11
	s_delay_alu instid0(VALU_DEP_1) | instskip(NEXT) | instid1(VALU_DEP_1)
	v_fmac_f32_e32 v9, v12, v8
	v_fma_f32 v5, -v5, v9, v11
	s_delay_alu instid0(VALU_DEP_1) | instskip(NEXT) | instid1(VALU_DEP_1)
	v_div_fmas_f32 v5, v5, v8, v9
	v_div_fixup_f32 v4, v5, v10, v4
	global_store_b32 v[6:7], v4, off offset:28
	s_cbranch_scc1 .LBB15_117
.LBB15_118:
	s_and_b32 s2, s28, 7
	s_mov_b32 s3, 0
	s_delay_alu instid0(SALU_CYCLE_1)
	s_cmp_eq_u64 s[2:3], 0
	s_cbranch_scc1 .LBB15_121
; %bb.119:
	s_mov_b64 s[4:5], s[2:3]
	s_set_inst_prefetch_distance 0x1
	.p2align	6
.LBB15_120:                             ; =>This Inner Loop Header: Depth=1
	s_lshl_b64 s[6:7], s[0:1], 2
	s_add_i32 s2, s0, 1
	v_add_co_u32 v4, vcc_lo, v0, s6
	v_add_co_ci_u32_e32 v5, vcc_lo, s7, v1, vcc_lo
	s_add_u32 s4, s4, -1
	s_addc_u32 s5, s5, -1
	s_mov_b64 s[0:1], s[2:3]
	flat_load_b32 v6, v[4:5]
	s_cmp_lg_u64 s[4:5], 0
	s_waitcnt vmcnt(0) lgkmcnt(0)
	v_div_scale_f32 v4, null, v10, v10, v6
	v_div_scale_f32 v8, vcc_lo, v6, v10, v6
	s_delay_alu instid0(VALU_DEP_2) | instskip(SKIP_2) | instid1(VALU_DEP_1)
	v_rcp_f32_e32 v5, v4
	s_waitcnt_depctr 0xfff
	v_fma_f32 v7, -v4, v5, 1.0
	v_fmac_f32_e32 v5, v7, v5
	s_delay_alu instid0(VALU_DEP_1) | instskip(NEXT) | instid1(VALU_DEP_1)
	v_mul_f32_e32 v7, v8, v5
	v_fma_f32 v9, -v4, v7, v8
	s_delay_alu instid0(VALU_DEP_1) | instskip(NEXT) | instid1(VALU_DEP_1)
	v_fmac_f32_e32 v7, v9, v5
	v_fma_f32 v4, -v4, v7, v8
	s_delay_alu instid0(VALU_DEP_1) | instskip(SKIP_2) | instid1(VALU_DEP_3)
	v_div_fmas_f32 v7, v4, v5, v7
	v_add_co_u32 v4, vcc_lo, v2, s6
	v_add_co_ci_u32_e32 v5, vcc_lo, s7, v3, vcc_lo
	v_div_fixup_f32 v6, v7, v10, v6
	global_store_b32 v[4:5], v6, off
	s_cbranch_scc1 .LBB15_120
.LBB15_121:
	s_set_inst_prefetch_distance 0x2
	s_nop 0
	s_sendmsg sendmsg(MSG_DEALLOC_VGPRS)
	s_endpgm
	.section	.rodata,"a",@progbits
	.p2align	6, 0x0
	.amdhsa_kernel _Z21moe_fused_gate_kernelIfLi16ELi128ELi8ELi1EEvPvS0_PfPilllldi
		.amdhsa_group_segment_fixed_size 0
		.amdhsa_private_segment_fixed_size 0
		.amdhsa_kernarg_size 76
		.amdhsa_user_sgpr_count 15
		.amdhsa_user_sgpr_dispatch_ptr 0
		.amdhsa_user_sgpr_queue_ptr 0
		.amdhsa_user_sgpr_kernarg_segment_ptr 1
		.amdhsa_user_sgpr_dispatch_id 0
		.amdhsa_user_sgpr_private_segment_size 0
		.amdhsa_wavefront_size32 1
		.amdhsa_uses_dynamic_stack 0
		.amdhsa_enable_private_segment 0
		.amdhsa_system_sgpr_workgroup_id_x 1
		.amdhsa_system_sgpr_workgroup_id_y 0
		.amdhsa_system_sgpr_workgroup_id_z 0
		.amdhsa_system_sgpr_workgroup_info 0
		.amdhsa_system_vgpr_workitem_id 1
		.amdhsa_next_free_vgpr 49
		.amdhsa_next_free_sgpr 34
		.amdhsa_reserve_vcc 1
		.amdhsa_float_round_mode_32 0
		.amdhsa_float_round_mode_16_64 0
		.amdhsa_float_denorm_mode_32 3
		.amdhsa_float_denorm_mode_16_64 3
		.amdhsa_dx10_clamp 1
		.amdhsa_ieee_mode 1
		.amdhsa_fp16_overflow 0
		.amdhsa_workgroup_processor_mode 1
		.amdhsa_memory_ordered 1
		.amdhsa_forward_progress 0
		.amdhsa_shared_vgpr_count 0
		.amdhsa_exception_fp_ieee_invalid_op 0
		.amdhsa_exception_fp_denorm_src 0
		.amdhsa_exception_fp_ieee_div_zero 0
		.amdhsa_exception_fp_ieee_overflow 0
		.amdhsa_exception_fp_ieee_underflow 0
		.amdhsa_exception_fp_ieee_inexact 0
		.amdhsa_exception_int_div_zero 0
	.end_amdhsa_kernel
	.section	.text._Z21moe_fused_gate_kernelIfLi16ELi128ELi8ELi1EEvPvS0_PfPilllldi,"axG",@progbits,_Z21moe_fused_gate_kernelIfLi16ELi128ELi8ELi1EEvPvS0_PfPilllldi,comdat
.Lfunc_end15:
	.size	_Z21moe_fused_gate_kernelIfLi16ELi128ELi8ELi1EEvPvS0_PfPilllldi, .Lfunc_end15-_Z21moe_fused_gate_kernelIfLi16ELi128ELi8ELi1EEvPvS0_PfPilllldi
                                        ; -- End function
	.section	.AMDGPU.csdata,"",@progbits
; Kernel info:
; codeLenInByte = 8240
; NumSgprs: 36
; NumVgprs: 49
; ScratchSize: 0
; MemoryBound: 1
; FloatMode: 240
; IeeeMode: 1
; LDSByteSize: 0 bytes/workgroup (compile time only)
; SGPRBlocks: 4
; VGPRBlocks: 6
; NumSGPRsForWavesPerEU: 36
; NumVGPRsForWavesPerEU: 49
; Occupancy: 16
; WaveLimiterHint : 0
; COMPUTE_PGM_RSRC2:SCRATCH_EN: 0
; COMPUTE_PGM_RSRC2:USER_SGPR: 15
; COMPUTE_PGM_RSRC2:TRAP_HANDLER: 0
; COMPUTE_PGM_RSRC2:TGID_X_EN: 1
; COMPUTE_PGM_RSRC2:TGID_Y_EN: 0
; COMPUTE_PGM_RSRC2:TGID_Z_EN: 0
; COMPUTE_PGM_RSRC2:TIDIG_COMP_CNT: 1
	.section	.text._Z21moe_fused_gate_kernelItLi12ELi96ELi8ELi1EEvPvS0_PfPilllldi,"axG",@progbits,_Z21moe_fused_gate_kernelItLi12ELi96ELi8ELi1EEvPvS0_PfPilllldi,comdat
	.protected	_Z21moe_fused_gate_kernelItLi12ELi96ELi8ELi1EEvPvS0_PfPilllldi ; -- Begin function _Z21moe_fused_gate_kernelItLi12ELi96ELi8ELi1EEvPvS0_PfPilllldi
	.globl	_Z21moe_fused_gate_kernelItLi12ELi96ELi8ELi1EEvPvS0_PfPilllldi
	.p2align	8
	.type	_Z21moe_fused_gate_kernelItLi12ELi96ELi8ELi1EEvPvS0_PfPilllldi,@function
_Z21moe_fused_gate_kernelItLi12ELi96ELi8ELi1EEvPvS0_PfPilllldi: ; @_Z21moe_fused_gate_kernelItLi12ELi96ELi8ELi1EEvPvS0_PfPilllldi
; %bb.0:
	s_load_b512 s[16:31], s[0:1], 0x0
	v_bfe_u32 v1, v0, 10, 10
	s_mov_b32 s2, exec_lo
	v_mov_b32_e32 v16, 0
	v_and_b32_e32 v0, 0x3ff, v0
	s_delay_alu instid0(VALU_DEP_3) | instskip(NEXT) | instid1(VALU_DEP_3)
	v_add_nc_u32_e32 v1, s15, v1
	v_mov_b32_e32 v9, v16
	s_delay_alu instid0(VALU_DEP_3) | instskip(NEXT) | instid1(VALU_DEP_1)
	v_lshrrev_b32_e32 v22, 3, v0
	v_lshl_add_u32 v8, v1, 2, v22
	s_waitcnt lgkmcnt(0)
	s_delay_alu instid0(VALU_DEP_1)
	v_cmpx_gt_i64_e64 s[24:25], v[8:9]
	s_cbranch_execz .LBB16_97
; %bb.1:
	v_and_b32_e32 v14, 7, v0
	v_mad_u64_u32 v[0:1], null, 0xc0, v8, s[16:17]
	s_mov_b32 s2, exec_lo
	s_delay_alu instid0(VALU_DEP_2) | instskip(NEXT) | instid1(VALU_DEP_1)
	v_mul_u32_u24_e32 v15, 12, v14
	v_lshlrev_b32_e32 v2, 1, v15
	s_delay_alu instid0(VALU_DEP_1) | instskip(NEXT) | instid1(VALU_DEP_4)
	v_add_co_u32 v0, vcc_lo, v0, v2
	v_add_co_ci_u32_e32 v1, vcc_lo, 0, v1, vcc_lo
	s_clause 0x1
	global_load_b128 v[4:7], v[0:1], off
	global_load_b64 v[12:13], v[0:1], off offset:16
	s_clause 0x1
	global_load_b64 v[10:11], v2, s[18:19] offset:16
	global_load_b128 v[0:3], v2, s[18:19]
	s_waitcnt vmcnt(3)
	v_lshlrev_b32_e32 v17, 16, v4
	s_delay_alu instid0(VALU_DEP_1)
	v_cmpx_o_f32_e32 v17, v17
	s_cbranch_execz .LBB16_3
; %bb.2:
	v_mul_f32_e32 v16, 0xbfb8aa3b, v17
	v_cmp_nlt_f32_e32 vcc_lo, 0x42ce8ed0, v17
	s_delay_alu instid0(VALU_DEP_2) | instskip(SKIP_1) | instid1(VALU_DEP_1)
	v_rndne_f32_e32 v18, v16
	v_fma_f32 v19, 0xbfb8aa3b, v17, -v16
	v_dual_sub_f32 v16, v16, v18 :: v_dual_fmamk_f32 v19, v17, 0xb2a5705f, v19
	v_cvt_i32_f32_e32 v18, v18
	s_delay_alu instid0(VALU_DEP_2) | instskip(NEXT) | instid1(VALU_DEP_1)
	v_add_f32_e32 v16, v16, v19
	v_exp_f32_e32 v16, v16
	s_waitcnt_depctr 0xfff
	v_ldexp_f32 v16, v16, v18
	s_delay_alu instid0(VALU_DEP_1) | instskip(SKIP_1) | instid1(VALU_DEP_2)
	v_cndmask_b32_e32 v16, 0, v16, vcc_lo
	v_cmp_ngt_f32_e32 vcc_lo, 0xc2b17218, v17
	v_cndmask_b32_e32 v16, 0x7f800000, v16, vcc_lo
	s_delay_alu instid0(VALU_DEP_1) | instskip(NEXT) | instid1(VALU_DEP_1)
	v_add_f32_e32 v16, 1.0, v16
	v_div_scale_f32 v17, null, v16, v16, 1.0
	s_delay_alu instid0(VALU_DEP_1) | instskip(SKIP_2) | instid1(VALU_DEP_1)
	v_rcp_f32_e32 v18, v17
	s_waitcnt_depctr 0xfff
	v_fma_f32 v19, -v17, v18, 1.0
	v_fmac_f32_e32 v18, v19, v18
	v_div_scale_f32 v19, vcc_lo, 1.0, v16, 1.0
	s_delay_alu instid0(VALU_DEP_1) | instskip(NEXT) | instid1(VALU_DEP_1)
	v_mul_f32_e32 v20, v19, v18
	v_fma_f32 v21, -v17, v20, v19
	s_delay_alu instid0(VALU_DEP_1) | instskip(NEXT) | instid1(VALU_DEP_1)
	v_fmac_f32_e32 v20, v21, v18
	v_fma_f32 v17, -v17, v20, v19
	s_delay_alu instid0(VALU_DEP_1) | instskip(NEXT) | instid1(VALU_DEP_1)
	v_div_fmas_f32 v17, v17, v18, v20
	v_div_fixup_f32 v16, v17, v16, 1.0
.LBB16_3:
	s_or_b32 exec_lo, exec_lo, s2
	v_dual_mov_b32 v17, 0 :: v_dual_and_b32 v4, 0xffff0000, v4
	v_mov_b32_e32 v18, 0
	s_mov_b32 s2, exec_lo
	s_delay_alu instid0(VALU_DEP_2)
	v_cmpx_o_f32_e32 v4, v4
	s_cbranch_execz .LBB16_5
; %bb.4:
	v_mul_f32_e32 v18, 0xbfb8aa3b, v4
	v_cmp_nlt_f32_e32 vcc_lo, 0x42ce8ed0, v4
	s_delay_alu instid0(VALU_DEP_2) | instskip(SKIP_1) | instid1(VALU_DEP_2)
	v_rndne_f32_e32 v19, v18
	v_fma_f32 v20, 0xbfb8aa3b, v4, -v18
	v_sub_f32_e32 v18, v18, v19
	s_delay_alu instid0(VALU_DEP_2) | instskip(SKIP_1) | instid1(VALU_DEP_2)
	v_fmamk_f32 v20, v4, 0xb2a5705f, v20
	v_cvt_i32_f32_e32 v19, v19
	v_add_f32_e32 v18, v18, v20
	s_delay_alu instid0(VALU_DEP_1) | instskip(SKIP_2) | instid1(VALU_DEP_1)
	v_exp_f32_e32 v18, v18
	s_waitcnt_depctr 0xfff
	v_ldexp_f32 v18, v18, v19
	v_cndmask_b32_e32 v18, 0, v18, vcc_lo
	v_cmp_ngt_f32_e32 vcc_lo, 0xc2b17218, v4
	s_delay_alu instid0(VALU_DEP_2) | instskip(NEXT) | instid1(VALU_DEP_1)
	v_cndmask_b32_e32 v4, 0x7f800000, v18, vcc_lo
	v_add_f32_e32 v4, 1.0, v4
	s_delay_alu instid0(VALU_DEP_1) | instskip(NEXT) | instid1(VALU_DEP_1)
	v_div_scale_f32 v18, null, v4, v4, 1.0
	v_rcp_f32_e32 v19, v18
	s_waitcnt_depctr 0xfff
	v_fma_f32 v20, -v18, v19, 1.0
	s_delay_alu instid0(VALU_DEP_1) | instskip(SKIP_1) | instid1(VALU_DEP_1)
	v_fmac_f32_e32 v19, v20, v19
	v_div_scale_f32 v20, vcc_lo, 1.0, v4, 1.0
	v_mul_f32_e32 v21, v20, v19
	s_delay_alu instid0(VALU_DEP_1) | instskip(NEXT) | instid1(VALU_DEP_1)
	v_fma_f32 v23, -v18, v21, v20
	v_fmac_f32_e32 v21, v23, v19
	s_delay_alu instid0(VALU_DEP_1) | instskip(NEXT) | instid1(VALU_DEP_1)
	v_fma_f32 v18, -v18, v21, v20
	v_div_fmas_f32 v18, v18, v19, v21
	s_delay_alu instid0(VALU_DEP_1)
	v_div_fixup_f32 v18, v18, v4, 1.0
.LBB16_5:
	s_or_b32 exec_lo, exec_lo, s2
	v_lshlrev_b32_e32 v4, 16, v5
	s_mov_b32 s2, exec_lo
	s_delay_alu instid0(VALU_DEP_1)
	v_cmpx_o_f32_e32 v4, v4
	s_cbranch_execz .LBB16_7
; %bb.6:
	v_mul_f32_e32 v17, 0xbfb8aa3b, v4
	v_cmp_nlt_f32_e32 vcc_lo, 0x42ce8ed0, v4
	s_delay_alu instid0(VALU_DEP_2) | instskip(SKIP_1) | instid1(VALU_DEP_1)
	v_rndne_f32_e32 v19, v17
	v_fma_f32 v20, 0xbfb8aa3b, v4, -v17
	v_dual_sub_f32 v17, v17, v19 :: v_dual_fmamk_f32 v20, v4, 0xb2a5705f, v20
	v_cvt_i32_f32_e32 v19, v19
	s_delay_alu instid0(VALU_DEP_2) | instskip(NEXT) | instid1(VALU_DEP_1)
	v_add_f32_e32 v17, v17, v20
	v_exp_f32_e32 v17, v17
	s_waitcnt_depctr 0xfff
	v_ldexp_f32 v17, v17, v19
	s_delay_alu instid0(VALU_DEP_1) | instskip(SKIP_1) | instid1(VALU_DEP_2)
	v_cndmask_b32_e32 v17, 0, v17, vcc_lo
	v_cmp_ngt_f32_e32 vcc_lo, 0xc2b17218, v4
	v_cndmask_b32_e32 v4, 0x7f800000, v17, vcc_lo
	s_delay_alu instid0(VALU_DEP_1) | instskip(NEXT) | instid1(VALU_DEP_1)
	v_add_f32_e32 v4, 1.0, v4
	v_div_scale_f32 v17, null, v4, v4, 1.0
	s_delay_alu instid0(VALU_DEP_1) | instskip(SKIP_2) | instid1(VALU_DEP_1)
	v_rcp_f32_e32 v19, v17
	s_waitcnt_depctr 0xfff
	v_fma_f32 v20, -v17, v19, 1.0
	v_fmac_f32_e32 v19, v20, v19
	v_div_scale_f32 v20, vcc_lo, 1.0, v4, 1.0
	s_delay_alu instid0(VALU_DEP_1) | instskip(NEXT) | instid1(VALU_DEP_1)
	v_mul_f32_e32 v21, v20, v19
	v_fma_f32 v23, -v17, v21, v20
	s_delay_alu instid0(VALU_DEP_1) | instskip(NEXT) | instid1(VALU_DEP_1)
	v_fmac_f32_e32 v21, v23, v19
	v_fma_f32 v17, -v17, v21, v20
	s_delay_alu instid0(VALU_DEP_1) | instskip(NEXT) | instid1(VALU_DEP_1)
	v_div_fmas_f32 v17, v17, v19, v21
	v_div_fixup_f32 v17, v17, v4, 1.0
.LBB16_7:
	s_or_b32 exec_lo, exec_lo, s2
	v_dual_mov_b32 v19, 0 :: v_dual_and_b32 v4, 0xffff0000, v5
	v_mov_b32_e32 v20, 0
	s_mov_b32 s2, exec_lo
	s_delay_alu instid0(VALU_DEP_2)
	v_cmpx_o_f32_e32 v4, v4
	s_cbranch_execz .LBB16_9
; %bb.8:
	v_mul_f32_e32 v5, 0xbfb8aa3b, v4
	v_cmp_nlt_f32_e32 vcc_lo, 0x42ce8ed0, v4
	s_delay_alu instid0(VALU_DEP_2) | instskip(SKIP_1) | instid1(VALU_DEP_2)
	v_rndne_f32_e32 v20, v5
	v_fma_f32 v21, 0xbfb8aa3b, v4, -v5
	v_sub_f32_e32 v5, v5, v20
	s_delay_alu instid0(VALU_DEP_2) | instskip(SKIP_1) | instid1(VALU_DEP_2)
	v_fmamk_f32 v21, v4, 0xb2a5705f, v21
	v_cvt_i32_f32_e32 v20, v20
	v_add_f32_e32 v5, v5, v21
	s_delay_alu instid0(VALU_DEP_1) | instskip(SKIP_2) | instid1(VALU_DEP_1)
	v_exp_f32_e32 v5, v5
	s_waitcnt_depctr 0xfff
	v_ldexp_f32 v5, v5, v20
	v_cndmask_b32_e32 v5, 0, v5, vcc_lo
	v_cmp_ngt_f32_e32 vcc_lo, 0xc2b17218, v4
	s_delay_alu instid0(VALU_DEP_2) | instskip(NEXT) | instid1(VALU_DEP_1)
	v_cndmask_b32_e32 v4, 0x7f800000, v5, vcc_lo
	v_add_f32_e32 v4, 1.0, v4
	s_delay_alu instid0(VALU_DEP_1) | instskip(NEXT) | instid1(VALU_DEP_1)
	v_div_scale_f32 v5, null, v4, v4, 1.0
	v_rcp_f32_e32 v20, v5
	s_waitcnt_depctr 0xfff
	v_fma_f32 v21, -v5, v20, 1.0
	s_delay_alu instid0(VALU_DEP_1) | instskip(SKIP_1) | instid1(VALU_DEP_1)
	v_fmac_f32_e32 v20, v21, v20
	v_div_scale_f32 v21, vcc_lo, 1.0, v4, 1.0
	v_mul_f32_e32 v23, v21, v20
	s_delay_alu instid0(VALU_DEP_1) | instskip(NEXT) | instid1(VALU_DEP_1)
	v_fma_f32 v24, -v5, v23, v21
	v_fmac_f32_e32 v23, v24, v20
	s_delay_alu instid0(VALU_DEP_1) | instskip(NEXT) | instid1(VALU_DEP_1)
	v_fma_f32 v5, -v5, v23, v21
	v_div_fmas_f32 v5, v5, v20, v23
	s_delay_alu instid0(VALU_DEP_1)
	v_div_fixup_f32 v20, v5, v4, 1.0
.LBB16_9:
	s_or_b32 exec_lo, exec_lo, s2
	v_lshlrev_b32_e32 v4, 16, v6
	s_mov_b32 s2, exec_lo
	s_delay_alu instid0(VALU_DEP_1)
	v_cmpx_o_f32_e32 v4, v4
	s_cbranch_execz .LBB16_11
; %bb.10:
	v_mul_f32_e32 v5, 0xbfb8aa3b, v4
	v_cmp_nlt_f32_e32 vcc_lo, 0x42ce8ed0, v4
	s_delay_alu instid0(VALU_DEP_2) | instskip(SKIP_1) | instid1(VALU_DEP_2)
	v_rndne_f32_e32 v19, v5
	v_fma_f32 v21, 0xbfb8aa3b, v4, -v5
	v_sub_f32_e32 v5, v5, v19
	s_delay_alu instid0(VALU_DEP_2) | instskip(SKIP_1) | instid1(VALU_DEP_2)
	v_fmamk_f32 v21, v4, 0xb2a5705f, v21
	v_cvt_i32_f32_e32 v19, v19
	v_add_f32_e32 v5, v5, v21
	s_delay_alu instid0(VALU_DEP_1) | instskip(SKIP_2) | instid1(VALU_DEP_1)
	v_exp_f32_e32 v5, v5
	s_waitcnt_depctr 0xfff
	v_ldexp_f32 v5, v5, v19
	v_cndmask_b32_e32 v5, 0, v5, vcc_lo
	v_cmp_ngt_f32_e32 vcc_lo, 0xc2b17218, v4
	s_delay_alu instid0(VALU_DEP_2) | instskip(NEXT) | instid1(VALU_DEP_1)
	v_cndmask_b32_e32 v4, 0x7f800000, v5, vcc_lo
	v_add_f32_e32 v4, 1.0, v4
	s_delay_alu instid0(VALU_DEP_1) | instskip(NEXT) | instid1(VALU_DEP_1)
	v_div_scale_f32 v5, null, v4, v4, 1.0
	v_rcp_f32_e32 v19, v5
	s_waitcnt_depctr 0xfff
	v_fma_f32 v21, -v5, v19, 1.0
	s_delay_alu instid0(VALU_DEP_1) | instskip(SKIP_1) | instid1(VALU_DEP_1)
	v_fmac_f32_e32 v19, v21, v19
	v_div_scale_f32 v21, vcc_lo, 1.0, v4, 1.0
	v_mul_f32_e32 v23, v21, v19
	s_delay_alu instid0(VALU_DEP_1) | instskip(NEXT) | instid1(VALU_DEP_1)
	v_fma_f32 v24, -v5, v23, v21
	v_fmac_f32_e32 v23, v24, v19
	s_delay_alu instid0(VALU_DEP_1) | instskip(NEXT) | instid1(VALU_DEP_1)
	v_fma_f32 v5, -v5, v23, v21
	v_div_fmas_f32 v5, v5, v19, v23
	s_delay_alu instid0(VALU_DEP_1)
	v_div_fixup_f32 v19, v5, v4, 1.0
.LBB16_11:
	s_or_b32 exec_lo, exec_lo, s2
	v_dual_mov_b32 v21, 0 :: v_dual_and_b32 v4, 0xffff0000, v6
	v_mov_b32_e32 v6, 0
	s_mov_b32 s2, exec_lo
	s_delay_alu instid0(VALU_DEP_2)
	v_cmpx_o_f32_e32 v4, v4
	s_cbranch_execz .LBB16_13
; %bb.12:
	v_mul_f32_e32 v5, 0xbfb8aa3b, v4
	v_cmp_nlt_f32_e32 vcc_lo, 0x42ce8ed0, v4
	s_delay_alu instid0(VALU_DEP_2) | instskip(SKIP_1) | instid1(VALU_DEP_2)
	v_rndne_f32_e32 v21, v5
	v_fma_f32 v23, 0xbfb8aa3b, v4, -v5
	v_sub_f32_e32 v5, v5, v21
	s_delay_alu instid0(VALU_DEP_2) | instskip(SKIP_1) | instid1(VALU_DEP_2)
	v_fmamk_f32 v23, v4, 0xb2a5705f, v23
	v_cvt_i32_f32_e32 v21, v21
	v_add_f32_e32 v5, v5, v23
	s_delay_alu instid0(VALU_DEP_1) | instskip(SKIP_2) | instid1(VALU_DEP_1)
	v_exp_f32_e32 v5, v5
	s_waitcnt_depctr 0xfff
	v_ldexp_f32 v5, v5, v21
	v_cndmask_b32_e32 v5, 0, v5, vcc_lo
	v_cmp_ngt_f32_e32 vcc_lo, 0xc2b17218, v4
	s_delay_alu instid0(VALU_DEP_2) | instskip(NEXT) | instid1(VALU_DEP_1)
	v_cndmask_b32_e32 v4, 0x7f800000, v5, vcc_lo
	v_add_f32_e32 v4, 1.0, v4
	s_delay_alu instid0(VALU_DEP_1) | instskip(NEXT) | instid1(VALU_DEP_1)
	v_div_scale_f32 v5, null, v4, v4, 1.0
	v_rcp_f32_e32 v21, v5
	s_waitcnt_depctr 0xfff
	v_fma_f32 v23, -v5, v21, 1.0
	s_delay_alu instid0(VALU_DEP_1) | instskip(SKIP_1) | instid1(VALU_DEP_1)
	v_fmac_f32_e32 v21, v23, v21
	v_div_scale_f32 v23, vcc_lo, 1.0, v4, 1.0
	v_mul_f32_e32 v24, v23, v21
	s_delay_alu instid0(VALU_DEP_1) | instskip(NEXT) | instid1(VALU_DEP_1)
	v_fma_f32 v25, -v5, v24, v23
	v_fmac_f32_e32 v24, v25, v21
	s_delay_alu instid0(VALU_DEP_1) | instskip(NEXT) | instid1(VALU_DEP_1)
	v_fma_f32 v5, -v5, v24, v23
	v_div_fmas_f32 v5, v5, v21, v24
	s_delay_alu instid0(VALU_DEP_1)
	v_div_fixup_f32 v21, v5, v4, 1.0
.LBB16_13:
	s_or_b32 exec_lo, exec_lo, s2
	v_lshlrev_b32_e32 v4, 16, v7
	s_mov_b32 s2, exec_lo
	s_delay_alu instid0(VALU_DEP_1)
	v_cmpx_o_f32_e32 v4, v4
	s_cbranch_execz .LBB16_15
; %bb.14:
	v_mul_f32_e32 v5, 0xbfb8aa3b, v4
	v_cmp_nlt_f32_e32 vcc_lo, 0x42ce8ed0, v4
	s_delay_alu instid0(VALU_DEP_2) | instskip(SKIP_1) | instid1(VALU_DEP_2)
	v_rndne_f32_e32 v6, v5
	v_fma_f32 v23, 0xbfb8aa3b, v4, -v5
	v_sub_f32_e32 v5, v5, v6
	s_delay_alu instid0(VALU_DEP_2) | instskip(SKIP_1) | instid1(VALU_DEP_2)
	v_fmamk_f32 v23, v4, 0xb2a5705f, v23
	v_cvt_i32_f32_e32 v6, v6
	v_add_f32_e32 v5, v5, v23
	s_delay_alu instid0(VALU_DEP_1) | instskip(SKIP_2) | instid1(VALU_DEP_1)
	v_exp_f32_e32 v5, v5
	s_waitcnt_depctr 0xfff
	v_ldexp_f32 v5, v5, v6
	v_cndmask_b32_e32 v5, 0, v5, vcc_lo
	v_cmp_ngt_f32_e32 vcc_lo, 0xc2b17218, v4
	s_delay_alu instid0(VALU_DEP_2) | instskip(NEXT) | instid1(VALU_DEP_1)
	v_cndmask_b32_e32 v4, 0x7f800000, v5, vcc_lo
	v_add_f32_e32 v4, 1.0, v4
	s_delay_alu instid0(VALU_DEP_1) | instskip(NEXT) | instid1(VALU_DEP_1)
	v_div_scale_f32 v5, null, v4, v4, 1.0
	v_rcp_f32_e32 v6, v5
	s_waitcnt_depctr 0xfff
	v_fma_f32 v23, -v5, v6, 1.0
	s_delay_alu instid0(VALU_DEP_1) | instskip(SKIP_1) | instid1(VALU_DEP_1)
	v_fmac_f32_e32 v6, v23, v6
	v_div_scale_f32 v23, vcc_lo, 1.0, v4, 1.0
	v_mul_f32_e32 v24, v23, v6
	s_delay_alu instid0(VALU_DEP_1) | instskip(NEXT) | instid1(VALU_DEP_1)
	v_fma_f32 v25, -v5, v24, v23
	v_fmac_f32_e32 v24, v25, v6
	s_delay_alu instid0(VALU_DEP_1) | instskip(NEXT) | instid1(VALU_DEP_1)
	v_fma_f32 v5, -v5, v24, v23
	v_div_fmas_f32 v5, v5, v6, v24
	s_delay_alu instid0(VALU_DEP_1)
	v_div_fixup_f32 v6, v5, v4, 1.0
.LBB16_15:
	s_or_b32 exec_lo, exec_lo, s2
	v_dual_mov_b32 v7, 0 :: v_dual_and_b32 v4, 0xffff0000, v7
	v_mov_b32_e32 v23, 0
	s_mov_b32 s2, exec_lo
	s_delay_alu instid0(VALU_DEP_2)
	v_cmpx_o_f32_e32 v4, v4
	s_cbranch_execz .LBB16_17
; %bb.16:
	v_mul_f32_e32 v5, 0xbfb8aa3b, v4
	v_cmp_nlt_f32_e32 vcc_lo, 0x42ce8ed0, v4
	s_delay_alu instid0(VALU_DEP_2) | instskip(SKIP_1) | instid1(VALU_DEP_1)
	v_rndne_f32_e32 v23, v5
	v_fma_f32 v24, 0xbfb8aa3b, v4, -v5
	v_dual_sub_f32 v5, v5, v23 :: v_dual_fmamk_f32 v24, v4, 0xb2a5705f, v24
	v_cvt_i32_f32_e32 v23, v23
	s_delay_alu instid0(VALU_DEP_2) | instskip(NEXT) | instid1(VALU_DEP_1)
	v_add_f32_e32 v5, v5, v24
	v_exp_f32_e32 v5, v5
	s_waitcnt_depctr 0xfff
	v_ldexp_f32 v5, v5, v23
	s_delay_alu instid0(VALU_DEP_1) | instskip(SKIP_1) | instid1(VALU_DEP_2)
	v_cndmask_b32_e32 v5, 0, v5, vcc_lo
	v_cmp_ngt_f32_e32 vcc_lo, 0xc2b17218, v4
	v_cndmask_b32_e32 v4, 0x7f800000, v5, vcc_lo
	s_delay_alu instid0(VALU_DEP_1) | instskip(NEXT) | instid1(VALU_DEP_1)
	v_add_f32_e32 v4, 1.0, v4
	v_div_scale_f32 v5, null, v4, v4, 1.0
	s_delay_alu instid0(VALU_DEP_1) | instskip(SKIP_2) | instid1(VALU_DEP_1)
	v_rcp_f32_e32 v23, v5
	s_waitcnt_depctr 0xfff
	v_fma_f32 v24, -v5, v23, 1.0
	v_fmac_f32_e32 v23, v24, v23
	v_div_scale_f32 v24, vcc_lo, 1.0, v4, 1.0
	s_delay_alu instid0(VALU_DEP_1) | instskip(NEXT) | instid1(VALU_DEP_1)
	v_mul_f32_e32 v25, v24, v23
	v_fma_f32 v26, -v5, v25, v24
	s_delay_alu instid0(VALU_DEP_1) | instskip(NEXT) | instid1(VALU_DEP_1)
	v_fmac_f32_e32 v25, v26, v23
	v_fma_f32 v5, -v5, v25, v24
	s_delay_alu instid0(VALU_DEP_1) | instskip(NEXT) | instid1(VALU_DEP_1)
	v_div_fmas_f32 v5, v5, v23, v25
	v_div_fixup_f32 v23, v5, v4, 1.0
.LBB16_17:
	s_or_b32 exec_lo, exec_lo, s2
	s_waitcnt vmcnt(2)
	v_lshlrev_b32_e32 v4, 16, v12
	s_mov_b32 s2, exec_lo
	s_delay_alu instid0(VALU_DEP_1)
	v_cmpx_o_f32_e32 v4, v4
	s_cbranch_execz .LBB16_19
; %bb.18:
	v_mul_f32_e32 v5, 0xbfb8aa3b, v4
	v_cmp_nlt_f32_e32 vcc_lo, 0x42ce8ed0, v4
	s_delay_alu instid0(VALU_DEP_2) | instskip(SKIP_1) | instid1(VALU_DEP_1)
	v_rndne_f32_e32 v7, v5
	v_fma_f32 v24, 0xbfb8aa3b, v4, -v5
	v_dual_sub_f32 v5, v5, v7 :: v_dual_fmamk_f32 v24, v4, 0xb2a5705f, v24
	v_cvt_i32_f32_e32 v7, v7
	s_delay_alu instid0(VALU_DEP_2) | instskip(NEXT) | instid1(VALU_DEP_1)
	v_add_f32_e32 v5, v5, v24
	v_exp_f32_e32 v5, v5
	s_waitcnt_depctr 0xfff
	v_ldexp_f32 v5, v5, v7
	s_delay_alu instid0(VALU_DEP_1) | instskip(SKIP_1) | instid1(VALU_DEP_2)
	v_cndmask_b32_e32 v5, 0, v5, vcc_lo
	v_cmp_ngt_f32_e32 vcc_lo, 0xc2b17218, v4
	v_cndmask_b32_e32 v4, 0x7f800000, v5, vcc_lo
	s_delay_alu instid0(VALU_DEP_1) | instskip(NEXT) | instid1(VALU_DEP_1)
	v_add_f32_e32 v4, 1.0, v4
	v_div_scale_f32 v5, null, v4, v4, 1.0
	s_delay_alu instid0(VALU_DEP_1) | instskip(SKIP_2) | instid1(VALU_DEP_1)
	v_rcp_f32_e32 v7, v5
	s_waitcnt_depctr 0xfff
	v_fma_f32 v24, -v5, v7, 1.0
	v_fmac_f32_e32 v7, v24, v7
	v_div_scale_f32 v24, vcc_lo, 1.0, v4, 1.0
	s_delay_alu instid0(VALU_DEP_1) | instskip(NEXT) | instid1(VALU_DEP_1)
	v_mul_f32_e32 v25, v24, v7
	v_fma_f32 v26, -v5, v25, v24
	s_delay_alu instid0(VALU_DEP_1) | instskip(NEXT) | instid1(VALU_DEP_1)
	v_fmac_f32_e32 v25, v26, v7
	v_fma_f32 v5, -v5, v25, v24
	s_delay_alu instid0(VALU_DEP_1) | instskip(NEXT) | instid1(VALU_DEP_1)
	v_div_fmas_f32 v5, v5, v7, v25
	v_div_fixup_f32 v7, v5, v4, 1.0
.LBB16_19:
	s_or_b32 exec_lo, exec_lo, s2
	v_and_b32_e32 v4, 0xffff0000, v12
	v_mov_b32_e32 v12, 0
	v_mov_b32_e32 v24, 0
	s_mov_b32 s2, exec_lo
	s_delay_alu instid0(VALU_DEP_3)
	v_cmpx_o_f32_e32 v4, v4
	s_cbranch_execz .LBB16_21
; %bb.20:
	v_mul_f32_e32 v5, 0xbfb8aa3b, v4
	v_cmp_nlt_f32_e32 vcc_lo, 0x42ce8ed0, v4
	s_delay_alu instid0(VALU_DEP_2) | instskip(SKIP_1) | instid1(VALU_DEP_2)
	v_rndne_f32_e32 v24, v5
	v_fma_f32 v25, 0xbfb8aa3b, v4, -v5
	v_sub_f32_e32 v5, v5, v24
	s_delay_alu instid0(VALU_DEP_2) | instskip(SKIP_1) | instid1(VALU_DEP_2)
	v_fmamk_f32 v25, v4, 0xb2a5705f, v25
	v_cvt_i32_f32_e32 v24, v24
	v_add_f32_e32 v5, v5, v25
	s_delay_alu instid0(VALU_DEP_1) | instskip(SKIP_2) | instid1(VALU_DEP_1)
	v_exp_f32_e32 v5, v5
	s_waitcnt_depctr 0xfff
	v_ldexp_f32 v5, v5, v24
	v_cndmask_b32_e32 v5, 0, v5, vcc_lo
	v_cmp_ngt_f32_e32 vcc_lo, 0xc2b17218, v4
	s_delay_alu instid0(VALU_DEP_2) | instskip(NEXT) | instid1(VALU_DEP_1)
	v_cndmask_b32_e32 v4, 0x7f800000, v5, vcc_lo
	v_add_f32_e32 v4, 1.0, v4
	s_delay_alu instid0(VALU_DEP_1) | instskip(NEXT) | instid1(VALU_DEP_1)
	v_div_scale_f32 v5, null, v4, v4, 1.0
	v_rcp_f32_e32 v24, v5
	s_waitcnt_depctr 0xfff
	v_fma_f32 v25, -v5, v24, 1.0
	s_delay_alu instid0(VALU_DEP_1) | instskip(SKIP_1) | instid1(VALU_DEP_1)
	v_fmac_f32_e32 v24, v25, v24
	v_div_scale_f32 v25, vcc_lo, 1.0, v4, 1.0
	v_mul_f32_e32 v26, v25, v24
	s_delay_alu instid0(VALU_DEP_1) | instskip(NEXT) | instid1(VALU_DEP_1)
	v_fma_f32 v27, -v5, v26, v25
	v_fmac_f32_e32 v26, v27, v24
	s_delay_alu instid0(VALU_DEP_1) | instskip(NEXT) | instid1(VALU_DEP_1)
	v_fma_f32 v5, -v5, v26, v25
	v_div_fmas_f32 v5, v5, v24, v26
	s_delay_alu instid0(VALU_DEP_1)
	v_div_fixup_f32 v24, v5, v4, 1.0
.LBB16_21:
	s_or_b32 exec_lo, exec_lo, s2
	v_lshlrev_b32_e32 v4, 16, v13
	s_mov_b32 s2, exec_lo
	s_delay_alu instid0(VALU_DEP_1)
	v_cmpx_o_f32_e32 v4, v4
	s_cbranch_execz .LBB16_23
; %bb.22:
	v_mul_f32_e32 v5, 0xbfb8aa3b, v4
	v_cmp_nlt_f32_e32 vcc_lo, 0x42ce8ed0, v4
	s_delay_alu instid0(VALU_DEP_2) | instskip(SKIP_1) | instid1(VALU_DEP_2)
	v_rndne_f32_e32 v12, v5
	v_fma_f32 v25, 0xbfb8aa3b, v4, -v5
	v_sub_f32_e32 v5, v5, v12
	s_delay_alu instid0(VALU_DEP_2) | instskip(SKIP_1) | instid1(VALU_DEP_2)
	v_fmamk_f32 v25, v4, 0xb2a5705f, v25
	v_cvt_i32_f32_e32 v12, v12
	v_add_f32_e32 v5, v5, v25
	s_delay_alu instid0(VALU_DEP_1) | instskip(SKIP_2) | instid1(VALU_DEP_1)
	v_exp_f32_e32 v5, v5
	s_waitcnt_depctr 0xfff
	v_ldexp_f32 v5, v5, v12
	v_cndmask_b32_e32 v5, 0, v5, vcc_lo
	v_cmp_ngt_f32_e32 vcc_lo, 0xc2b17218, v4
	s_delay_alu instid0(VALU_DEP_2) | instskip(NEXT) | instid1(VALU_DEP_1)
	v_cndmask_b32_e32 v4, 0x7f800000, v5, vcc_lo
	v_add_f32_e32 v4, 1.0, v4
	s_delay_alu instid0(VALU_DEP_1) | instskip(NEXT) | instid1(VALU_DEP_1)
	v_div_scale_f32 v5, null, v4, v4, 1.0
	v_rcp_f32_e32 v12, v5
	s_waitcnt_depctr 0xfff
	v_fma_f32 v25, -v5, v12, 1.0
	s_delay_alu instid0(VALU_DEP_1) | instskip(SKIP_1) | instid1(VALU_DEP_1)
	v_fmac_f32_e32 v12, v25, v12
	v_div_scale_f32 v25, vcc_lo, 1.0, v4, 1.0
	v_mul_f32_e32 v26, v25, v12
	s_delay_alu instid0(VALU_DEP_1) | instskip(NEXT) | instid1(VALU_DEP_1)
	v_fma_f32 v27, -v5, v26, v25
	v_fmac_f32_e32 v26, v27, v12
	s_delay_alu instid0(VALU_DEP_1) | instskip(NEXT) | instid1(VALU_DEP_1)
	v_fma_f32 v5, -v5, v26, v25
	v_div_fmas_f32 v5, v5, v12, v26
	s_delay_alu instid0(VALU_DEP_1)
	v_div_fixup_f32 v12, v5, v4, 1.0
.LBB16_23:
	s_or_b32 exec_lo, exec_lo, s2
	v_dual_mov_b32 v13, 0 :: v_dual_and_b32 v4, 0xffff0000, v13
	s_mov_b32 s2, exec_lo
	s_delay_alu instid0(VALU_DEP_1)
	v_cmpx_o_f32_e32 v4, v4
	s_cbranch_execz .LBB16_25
; %bb.24:
	v_mul_f32_e32 v5, 0xbfb8aa3b, v4
	v_cmp_nlt_f32_e32 vcc_lo, 0x42ce8ed0, v4
	s_delay_alu instid0(VALU_DEP_2) | instskip(SKIP_1) | instid1(VALU_DEP_2)
	v_rndne_f32_e32 v13, v5
	v_fma_f32 v25, 0xbfb8aa3b, v4, -v5
	v_sub_f32_e32 v5, v5, v13
	s_delay_alu instid0(VALU_DEP_2) | instskip(SKIP_1) | instid1(VALU_DEP_2)
	v_fmamk_f32 v25, v4, 0xb2a5705f, v25
	v_cvt_i32_f32_e32 v13, v13
	v_add_f32_e32 v5, v5, v25
	s_delay_alu instid0(VALU_DEP_1) | instskip(SKIP_2) | instid1(VALU_DEP_1)
	v_exp_f32_e32 v5, v5
	s_waitcnt_depctr 0xfff
	v_ldexp_f32 v5, v5, v13
	v_cndmask_b32_e32 v5, 0, v5, vcc_lo
	v_cmp_ngt_f32_e32 vcc_lo, 0xc2b17218, v4
	s_delay_alu instid0(VALU_DEP_2) | instskip(NEXT) | instid1(VALU_DEP_1)
	v_cndmask_b32_e32 v4, 0x7f800000, v5, vcc_lo
	v_add_f32_e32 v4, 1.0, v4
	s_delay_alu instid0(VALU_DEP_1) | instskip(NEXT) | instid1(VALU_DEP_1)
	v_div_scale_f32 v5, null, v4, v4, 1.0
	v_rcp_f32_e32 v13, v5
	s_waitcnt_depctr 0xfff
	v_fma_f32 v25, -v5, v13, 1.0
	s_delay_alu instid0(VALU_DEP_1) | instskip(SKIP_1) | instid1(VALU_DEP_1)
	v_fmac_f32_e32 v13, v25, v13
	v_div_scale_f32 v25, vcc_lo, 1.0, v4, 1.0
	v_mul_f32_e32 v26, v25, v13
	s_delay_alu instid0(VALU_DEP_1) | instskip(NEXT) | instid1(VALU_DEP_1)
	v_fma_f32 v27, -v5, v26, v25
	v_fmac_f32_e32 v26, v27, v13
	s_delay_alu instid0(VALU_DEP_1) | instskip(NEXT) | instid1(VALU_DEP_1)
	v_fma_f32 v5, -v5, v26, v25
	v_div_fmas_f32 v5, v5, v13, v26
	s_delay_alu instid0(VALU_DEP_1)
	v_div_fixup_f32 v13, v5, v4, 1.0
.LBB16_25:
	s_or_b32 exec_lo, exec_lo, s2
	s_waitcnt vmcnt(0)
	v_lshlrev_b32_e32 v4, 16, v0
	v_and_b32_e32 v0, 0xffff0000, v0
	s_mov_b32 s2, exec_lo
	s_delay_alu instid0(VALU_DEP_1) | instskip(NEXT) | instid1(VALU_DEP_1)
	v_add_f32_e32 v26, v18, v0
	v_mov_b32_e32 v5, v26
	v_add_f32_e32 v25, v16, v4
	s_delay_alu instid0(VALU_DEP_1) | instskip(NEXT) | instid1(VALU_DEP_1)
	v_max_f32_e32 v4, 0xff7fffff, v25
	v_mov_b32_e32 v0, v4
	v_cmpx_ngt_f32_e32 v26, v4
	s_cbranch_execz .LBB16_29
; %bb.26:
	v_mov_b32_e32 v0, 0xff7fffff
	s_mov_b32 s3, exec_lo
	v_cmpx_lt_f32_e32 0xff7fffff, v26
; %bb.27:
	v_mov_b32_e32 v0, v26
; %bb.28:
	s_or_b32 exec_lo, exec_lo, s3
	v_mov_b32_e32 v5, v4
.LBB16_29:
	s_or_b32 exec_lo, exec_lo, s2
	v_lshlrev_b32_e32 v4, 16, v1
	s_mov_b32 s2, exec_lo
	s_delay_alu instid0(VALU_DEP_1) | instskip(NEXT) | instid1(VALU_DEP_1)
	v_add_f32_e32 v27, v17, v4
	v_dual_mov_b32 v4, v5 :: v_dual_mov_b32 v29, v27
	v_cmpx_ngt_f32_e32 v27, v5
	s_cbranch_execz .LBB16_33
; %bb.30:
	s_mov_b32 s3, exec_lo
	v_cmpx_gt_f32_e32 v27, v0
; %bb.31:
	v_mov_b32_e32 v0, v27
; %bb.32:
	s_or_b32 exec_lo, exec_lo, s3
	s_delay_alu instid0(VALU_DEP_1)
	v_dual_mov_b32 v4, v0 :: v_dual_mov_b32 v29, v5
.LBB16_33:
	s_or_b32 exec_lo, exec_lo, s2
	v_and_b32_e32 v0, 0xffff0000, v1
	s_mov_b32 s2, exec_lo
	s_delay_alu instid0(VALU_DEP_1) | instskip(NEXT) | instid1(VALU_DEP_1)
	v_add_f32_e32 v28, v20, v0
	v_dual_mov_b32 v0, v29 :: v_dual_mov_b32 v5, v28
	v_cmpx_ngt_f32_e32 v28, v29
	s_cbranch_execz .LBB16_37
; %bb.34:
	s_mov_b32 s3, exec_lo
	v_cmpx_gt_f32_e32 v28, v4
; %bb.35:
	v_mov_b32_e32 v4, v28
; %bb.36:
	s_or_b32 exec_lo, exec_lo, s3
	s_delay_alu instid0(VALU_DEP_1)
	v_dual_mov_b32 v0, v4 :: v_dual_mov_b32 v5, v29
.LBB16_37:
	s_or_b32 exec_lo, exec_lo, s2
	v_lshlrev_b32_e32 v1, 16, v2
	s_mov_b32 s2, exec_lo
	s_delay_alu instid0(VALU_DEP_1) | instskip(SKIP_1) | instid1(VALU_DEP_2)
	v_add_f32_e32 v29, v19, v1
	v_mov_b32_e32 v1, v5
	v_mov_b32_e32 v4, v29
	v_cmpx_ngt_f32_e32 v29, v5
	s_cbranch_execz .LBB16_41
; %bb.38:
	s_mov_b32 s3, exec_lo
	v_cmpx_gt_f32_e32 v29, v0
; %bb.39:
	v_mov_b32_e32 v0, v29
; %bb.40:
	s_or_b32 exec_lo, exec_lo, s3
	s_delay_alu instid0(VALU_DEP_1)
	v_dual_mov_b32 v1, v0 :: v_dual_mov_b32 v4, v5
.LBB16_41:
	s_or_b32 exec_lo, exec_lo, s2
	v_and_b32_e32 v0, 0xffff0000, v2
	s_mov_b32 s2, exec_lo
	s_delay_alu instid0(VALU_DEP_1) | instskip(SKIP_1) | instid1(VALU_DEP_2)
	v_add_f32_e32 v30, v21, v0
	v_mov_b32_e32 v0, v4
	v_mov_b32_e32 v2, v30
	v_cmpx_ngt_f32_e32 v30, v4
	s_cbranch_execz .LBB16_45
; %bb.42:
	s_mov_b32 s3, exec_lo
	v_cmpx_gt_f32_e32 v30, v1
; %bb.43:
	v_mov_b32_e32 v1, v30
; %bb.44:
	s_or_b32 exec_lo, exec_lo, s3
	s_delay_alu instid0(VALU_DEP_1)
	v_mov_b32_e32 v0, v1
	v_mov_b32_e32 v2, v4
.LBB16_45:
	s_or_b32 exec_lo, exec_lo, s2
	v_lshlrev_b32_e32 v1, 16, v3
	s_mov_b32 s2, exec_lo
	s_delay_alu instid0(VALU_DEP_1) | instskip(NEXT) | instid1(VALU_DEP_1)
	v_add_f32_e32 v31, v6, v1
	v_dual_mov_b32 v1, v2 :: v_dual_mov_b32 v4, v31
	v_cmpx_ngt_f32_e32 v31, v2
	s_cbranch_execz .LBB16_49
; %bb.46:
	s_mov_b32 s3, exec_lo
	v_cmpx_gt_f32_e32 v31, v0
; %bb.47:
	v_mov_b32_e32 v0, v31
; %bb.48:
	s_or_b32 exec_lo, exec_lo, s3
	s_delay_alu instid0(VALU_DEP_1)
	v_dual_mov_b32 v1, v0 :: v_dual_mov_b32 v4, v2
.LBB16_49:
	s_or_b32 exec_lo, exec_lo, s2
	v_and_b32_e32 v0, 0xffff0000, v3
	s_mov_b32 s2, exec_lo
	s_delay_alu instid0(VALU_DEP_1) | instskip(SKIP_1) | instid1(VALU_DEP_2)
	v_add_f32_e32 v32, v23, v0
	v_mov_b32_e32 v0, v4
	v_mov_b32_e32 v2, v32
	v_cmpx_ngt_f32_e32 v32, v4
	s_cbranch_execz .LBB16_53
; %bb.50:
	s_mov_b32 s3, exec_lo
	v_cmpx_gt_f32_e32 v32, v1
; %bb.51:
	v_mov_b32_e32 v1, v32
; %bb.52:
	s_or_b32 exec_lo, exec_lo, s3
	s_delay_alu instid0(VALU_DEP_1)
	v_mov_b32_e32 v0, v1
	v_mov_b32_e32 v2, v4
.LBB16_53:
	s_or_b32 exec_lo, exec_lo, s2
	v_lshlrev_b32_e32 v1, 16, v10
	s_mov_b32 s2, exec_lo
	s_delay_alu instid0(VALU_DEP_1) | instskip(SKIP_1) | instid1(VALU_DEP_2)
	v_add_f32_e32 v33, v7, v1
	v_mov_b32_e32 v1, v2
	v_mov_b32_e32 v3, v33
	v_cmpx_ngt_f32_e32 v33, v2
	s_cbranch_execz .LBB16_57
; %bb.54:
	s_mov_b32 s3, exec_lo
	v_cmpx_gt_f32_e32 v33, v0
; %bb.55:
	v_mov_b32_e32 v0, v33
; %bb.56:
	s_or_b32 exec_lo, exec_lo, s3
	s_delay_alu instid0(VALU_DEP_1)
	v_mov_b32_e32 v1, v0
	v_mov_b32_e32 v3, v2
.LBB16_57:
	s_or_b32 exec_lo, exec_lo, s2
	v_and_b32_e32 v0, 0xffff0000, v10
	s_mov_b32 s2, exec_lo
	s_delay_alu instid0(VALU_DEP_1) | instskip(SKIP_1) | instid1(VALU_DEP_2)
	v_add_f32_e32 v34, v24, v0
	v_mov_b32_e32 v0, v3
	v_mov_b32_e32 v2, v34
	v_cmpx_ngt_f32_e32 v34, v3
	s_cbranch_execz .LBB16_61
; %bb.58:
	s_mov_b32 s3, exec_lo
	v_cmpx_gt_f32_e32 v34, v1
; %bb.59:
	v_mov_b32_e32 v1, v34
; %bb.60:
	s_or_b32 exec_lo, exec_lo, s3
	s_delay_alu instid0(VALU_DEP_1)
	v_mov_b32_e32 v0, v1
	v_mov_b32_e32 v2, v3
.LBB16_61:
	s_or_b32 exec_lo, exec_lo, s2
	v_lshlrev_b32_e32 v1, 16, v11
	s_mov_b32 s2, exec_lo
	s_delay_alu instid0(VALU_DEP_1) | instskip(SKIP_1) | instid1(VALU_DEP_2)
	v_add_f32_e32 v35, v12, v1
	v_mov_b32_e32 v1, v2
	v_mov_b32_e32 v3, v35
	v_cmpx_ngt_f32_e32 v35, v2
	s_cbranch_execz .LBB16_65
; %bb.62:
	s_mov_b32 s3, exec_lo
	v_cmpx_gt_f32_e32 v35, v0
; %bb.63:
	v_mov_b32_e32 v0, v35
; %bb.64:
	s_or_b32 exec_lo, exec_lo, s3
	s_delay_alu instid0(VALU_DEP_1)
	v_mov_b32_e32 v1, v0
	v_mov_b32_e32 v3, v2
.LBB16_65:
	s_or_b32 exec_lo, exec_lo, s2
	v_and_b32_e32 v0, 0xffff0000, v11
	s_mov_b32 s2, exec_lo
	s_delay_alu instid0(VALU_DEP_1) | instskip(NEXT) | instid1(VALU_DEP_1)
	v_dual_add_f32 v11, v13, v0 :: v_dual_mov_b32 v0, v3
	v_mov_b32_e32 v2, v11
	v_cmpx_ngt_f32_e32 v11, v3
	s_cbranch_execz .LBB16_69
; %bb.66:
	s_mov_b32 s3, exec_lo
	v_cmpx_gt_f32_e32 v11, v1
; %bb.67:
	v_mov_b32_e32 v1, v11
; %bb.68:
	s_or_b32 exec_lo, exec_lo, s3
	s_delay_alu instid0(VALU_DEP_1)
	v_mov_b32_e32 v0, v1
	v_mov_b32_e32 v2, v3
.LBB16_69:
	s_or_b32 exec_lo, exec_lo, s2
	v_cmp_lt_i64_e64 s2, s[26:27], 8
	s_delay_alu instid0(VALU_DEP_1)
	s_and_b32 vcc_lo, exec_lo, s2
	s_cbranch_vccz .LBB16_72
; %bb.70:
	v_add_f32_e32 v0, v0, v2
	s_sub_u32 s4, 8, s26
	s_subb_u32 s5, 0, s27
	s_mov_b64 s[6:7], 0
.LBB16_71:                              ; =>This Inner Loop Header: Depth=1
	s_delay_alu instid0(VALU_DEP_1) | instskip(SKIP_1) | instid1(VALU_DEP_2)
	v_mov_b32_dpp v1, v0 quad_perm:[1,0,3,2] row_mask:0xf bank_mask:0xf
	v_mov_b32_dpp v2, v15 quad_perm:[1,0,3,2] row_mask:0xf bank_mask:0xf
	v_cmp_eq_f32_e32 vcc_lo, v0, v1
	s_delay_alu instid0(VALU_DEP_2) | instskip(SKIP_1) | instid1(VALU_DEP_2)
	v_cmp_lt_i32_e64 s2, v15, v2
	v_cmp_lt_f32_e64 s3, v0, v1
	s_and_b32 s2, s2, vcc_lo
	s_delay_alu instid0(VALU_DEP_1) | instid1(SALU_CYCLE_1)
	s_or_b32 vcc_lo, s3, s2
	v_dual_cndmask_b32 v1, v1, v0 :: v_dual_cndmask_b32 v2, v2, v15
	s_delay_alu instid0(VALU_DEP_1) | instskip(NEXT) | instid1(VALU_DEP_2)
	v_mov_b32_dpp v3, v1 quad_perm:[2,3,0,1] row_mask:0xf bank_mask:0xf
	v_mov_b32_dpp v4, v2 quad_perm:[2,3,0,1] row_mask:0xf bank_mask:0xf
	s_delay_alu instid0(VALU_DEP_2) | instskip(NEXT) | instid1(VALU_DEP_2)
	v_cmp_eq_f32_e32 vcc_lo, v1, v3
	v_cmp_lt_i32_e64 s2, v2, v4
	s_delay_alu instid0(VALU_DEP_1) | instskip(SKIP_2) | instid1(VALU_DEP_2)
	s_and_b32 vcc_lo, vcc_lo, s2
	v_cmp_lt_f32_e64 s2, v1, v3
	v_cndmask_b32_e32 v5, v3, v1, vcc_lo
	s_or_b32 vcc_lo, s2, vcc_lo
	s_add_u32 s6, s6, 1
	v_cndmask_b32_e32 v2, v4, v2, vcc_lo
	s_delay_alu instid0(VALU_DEP_2) | instskip(SKIP_1) | instid1(SALU_CYCLE_1)
	v_cndmask_b32_e64 v1, v5, v1, s2
	s_addc_u32 s7, s7, 0
	v_cmp_le_i64_e64 s2, s[4:5], s[6:7]
	s_delay_alu instid0(VALU_DEP_3) | instskip(NEXT) | instid1(VALU_DEP_3)
	v_mov_b32_dpp v3, v2 row_half_mirror row_mask:0xf bank_mask:0xf
	v_mov_b32_dpp v4, v1 row_half_mirror row_mask:0xf bank_mask:0xf
	s_delay_alu instid0(VALU_DEP_2) | instskip(NEXT) | instid1(VALU_DEP_2)
	v_min_i32_e32 v5, v2, v3
	v_cmp_eq_f32_e32 vcc_lo, v1, v4
	s_delay_alu instid0(VALU_DEP_2) | instskip(SKIP_1) | instid1(VALU_DEP_2)
	v_cndmask_b32_e32 v3, v3, v5, vcc_lo
	v_cmp_lt_f32_e32 vcc_lo, v1, v4
	v_cndmask_b32_e32 v1, v3, v2, vcc_lo
	s_delay_alu instid0(VALU_DEP_1) | instskip(NEXT) | instid1(VALU_DEP_1)
	v_mul_hi_i32 v1, 0x2aaaaaab, v1
	v_lshrrev_b32_e32 v2, 31, v1
	v_ashrrev_i32_e32 v1, 1, v1
	s_delay_alu instid0(VALU_DEP_1) | instskip(NEXT) | instid1(VALU_DEP_1)
	v_add_nc_u32_e32 v1, v1, v2
	v_cmp_eq_u32_e32 vcc_lo, v14, v1
	v_cndmask_b32_e64 v25, v25, 0x7f7fffff, vcc_lo
	v_cndmask_b32_e64 v0, v0, 0x7f7fffff, vcc_lo
	s_and_b32 vcc_lo, exec_lo, s2
	s_cbranch_vccz .LBB16_71
.LBB16_72:
	s_sub_u32 s14, s28, s30
	s_subb_u32 s15, s29, s31
	s_mov_b64 s[2:3], src_shared_base
	s_cmp_lg_u32 0, -1
	v_lshlrev_b32_e32 v4, 2, v22
	s_cselect_b32 s2, s3, 0
	s_cselect_b32 s3, 0, 0
	s_load_b32 s18, s[0:1], 0x48
	s_add_u32 s4, s3, 0xff
	s_addc_u32 s3, s2, 0
	s_and_b32 s2, s4, 0xffffff00
	s_delay_alu instid0(SALU_CYCLE_1) | instskip(SKIP_1) | instid1(VALU_DEP_1)
	v_mad_u64_u32 v[0:1], null, v4, s28, s[2:3]
	v_cmp_lt_i64_e64 s2, s[14:15], 1
	s_and_b32 vcc_lo, exec_lo, s2
	s_delay_alu instid0(VALU_DEP_2) | instskip(SKIP_1) | instid1(VALU_DEP_2)
	v_mad_u64_u32 v[2:3], null, v4, s29, v[1:2]
	v_cmp_eq_u32_e64 s2, 0, v14
	v_mov_b32_e32 v1, v2
	s_cbranch_vccnz .LBB16_83
; %bb.73:
	s_waitcnt lgkmcnt(0)
	v_mad_u64_u32 v[2:3], null, s18, v8, 0
	s_ashr_i32 s3, s18, 31
	v_add_nc_u32_e32 v36, 5, v15
	v_dual_mov_b32 v10, 0 :: v_dual_add_nc_u32 v37, 6, v15
	v_add_nc_u32_e32 v38, 7, v15
	v_add_nc_u32_e32 v39, 8, v15
	v_mad_u64_u32 v[4:5], null, s3, v8, v[3:4]
	v_add_nc_u32_e32 v22, 4, v15
	v_add_nc_u32_e32 v40, 9, v15
	;; [unrolled: 1-line block ×4, first 2 shown]
	s_mov_b64 s[16:17], 0
	v_mov_b32_e32 v3, v4
	v_dual_mov_b32 v5, v1 :: v_dual_mov_b32 v4, v0
	s_delay_alu instid0(VALU_DEP_2) | instskip(NEXT) | instid1(VALU_DEP_1)
	v_lshlrev_b64 v[2:3], 2, v[2:3]
	v_add_co_u32 v2, vcc_lo, s22, v2
	s_delay_alu instid0(VALU_DEP_2)
	v_add_co_ci_u32_e32 v3, vcc_lo, s23, v3, vcc_lo
	s_branch .LBB16_75
.LBB16_74:                              ;   in Loop: Header=BB16_75 Depth=1
	s_or_b32 exec_lo, exec_lo, s3
	s_add_u32 s16, s16, 1
	s_addc_u32 s17, s17, 0
	v_add_co_u32 v2, vcc_lo, v2, 4
	v_cmp_le_i64_e64 s3, s[14:15], s[16:17]
	v_add_co_ci_u32_e32 v3, vcc_lo, 0, v3, vcc_lo
	v_add_co_u32 v4, vcc_lo, v4, 4
	v_add_co_ci_u32_e32 v5, vcc_lo, 0, v5, vcc_lo
	s_delay_alu instid0(VALU_DEP_4)
	s_and_b32 vcc_lo, exec_lo, s3
	s_cbranch_vccnz .LBB16_84
.LBB16_75:                              ; =>This Inner Loop Header: Depth=1
	v_dual_mov_b32 v43, 0xff7fffff :: v_dual_mov_b32 v44, v15
	s_mov_b32 s3, exec_lo
	v_cmpx_neq_f32_e32 0x7f7fffff, v25
	s_cbranch_execz .LBB16_77
; %bb.76:                               ;   in Loop: Header=BB16_75 Depth=1
	v_cmp_gt_f32_e32 vcc_lo, v26, v25
	v_cndmask_b32_e32 v43, v25, v26, vcc_lo
	v_cndmask_b32_e64 v44, 0, 1, vcc_lo
	s_delay_alu instid0(VALU_DEP_2) | instskip(SKIP_1) | instid1(VALU_DEP_3)
	v_cmp_gt_f32_e32 vcc_lo, v27, v43
	v_cndmask_b32_e32 v43, v43, v27, vcc_lo
	v_cndmask_b32_e64 v44, v44, 2, vcc_lo
	s_delay_alu instid0(VALU_DEP_2) | instskip(SKIP_1) | instid1(VALU_DEP_3)
	v_cmp_gt_f32_e32 vcc_lo, v28, v43
	v_cndmask_b32_e32 v43, v43, v28, vcc_lo
	v_cndmask_b32_e64 v44, v44, 3, vcc_lo
	s_delay_alu instid0(VALU_DEP_2) | instskip(NEXT) | instid1(VALU_DEP_2)
	v_cmp_gt_f32_e32 vcc_lo, v29, v43
	v_or_b32_e32 v44, v44, v15
	s_delay_alu instid0(VALU_DEP_1) | instskip(NEXT) | instid1(VALU_DEP_1)
	v_dual_cndmask_b32 v43, v43, v29 :: v_dual_cndmask_b32 v44, v44, v22
	v_cmp_gt_f32_e32 vcc_lo, v30, v43
	s_delay_alu instid0(VALU_DEP_2) | instskip(NEXT) | instid1(VALU_DEP_1)
	v_dual_cndmask_b32 v43, v43, v30 :: v_dual_cndmask_b32 v44, v44, v36
	v_cmp_gt_f32_e32 vcc_lo, v31, v43
	s_delay_alu instid0(VALU_DEP_2) | instskip(NEXT) | instid1(VALU_DEP_1)
	;; [unrolled: 3-line block ×6, first 2 shown]
	v_dual_cndmask_b32 v43, v43, v35 :: v_dual_cndmask_b32 v44, v44, v41
	v_cmp_gt_f32_e32 vcc_lo, v11, v43
	s_delay_alu instid0(VALU_DEP_2)
	v_dual_cndmask_b32 v44, v44, v42 :: v_dual_cndmask_b32 v43, v43, v11
.LBB16_77:                              ;   in Loop: Header=BB16_75 Depth=1
	s_or_b32 exec_lo, exec_lo, s3
	s_delay_alu instid0(VALU_DEP_1) | instskip(NEXT) | instid1(VALU_DEP_2)
	v_mov_b32_dpp v45, v43 quad_perm:[1,0,3,2] row_mask:0xf bank_mask:0xf
	v_mov_b32_dpp v46, v44 quad_perm:[1,0,3,2] row_mask:0xf bank_mask:0xf
	s_mov_b32 s19, exec_lo
	s_delay_alu instid0(VALU_DEP_2) | instskip(NEXT) | instid1(VALU_DEP_2)
	v_cmp_eq_f32_e32 vcc_lo, v43, v45
	v_cmp_lt_i32_e64 s3, v44, v46
	v_cmp_gt_f32_e64 s4, v43, v45
	s_delay_alu instid0(VALU_DEP_2)
	s_and_b32 s3, vcc_lo, s3
	s_delay_alu instid0(VALU_DEP_1) | instid1(SALU_CYCLE_1)
	s_or_b32 vcc_lo, s4, s3
	v_dual_cndmask_b32 v43, v45, v43 :: v_dual_cndmask_b32 v44, v46, v44
	s_delay_alu instid0(VALU_DEP_1) | instskip(NEXT) | instid1(VALU_DEP_2)
	v_mov_b32_dpp v45, v43 quad_perm:[2,3,0,1] row_mask:0xf bank_mask:0xf
	v_mov_b32_dpp v46, v44 quad_perm:[2,3,0,1] row_mask:0xf bank_mask:0xf
	s_delay_alu instid0(VALU_DEP_2) | instskip(NEXT) | instid1(VALU_DEP_2)
	v_cmp_eq_f32_e32 vcc_lo, v43, v45
	v_cmp_lt_i32_e64 s3, v44, v46
	s_delay_alu instid0(VALU_DEP_1) | instskip(SKIP_2) | instid1(VALU_DEP_2)
	s_and_b32 vcc_lo, vcc_lo, s3
	v_cmp_gt_f32_e64 s3, v43, v45
	v_cndmask_b32_e32 v47, v45, v43, vcc_lo
	s_or_b32 vcc_lo, s3, vcc_lo
	v_cndmask_b32_e32 v44, v46, v44, vcc_lo
	s_delay_alu instid0(VALU_DEP_2) | instskip(NEXT) | instid1(VALU_DEP_2)
	v_cndmask_b32_e64 v43, v47, v43, s3
	v_mov_b32_dpp v45, v44 row_half_mirror row_mask:0xf bank_mask:0xf
	s_delay_alu instid0(VALU_DEP_2) | instskip(NEXT) | instid1(VALU_DEP_2)
	v_mov_b32_dpp v46, v43 row_half_mirror row_mask:0xf bank_mask:0xf
	v_min_i32_e32 v47, v44, v45
	s_delay_alu instid0(VALU_DEP_2) | instskip(NEXT) | instid1(VALU_DEP_2)
	v_cmp_eq_f32_e32 vcc_lo, v43, v46
	v_cndmask_b32_e32 v45, v45, v47, vcc_lo
	v_cmp_gt_f32_e32 vcc_lo, v43, v46
	s_delay_alu instid0(VALU_DEP_2) | instskip(NEXT) | instid1(VALU_DEP_1)
	v_cndmask_b32_e32 v43, v45, v44, vcc_lo
	v_mul_hi_i32 v44, 0x2aaaaaab, v43
	s_delay_alu instid0(VALU_DEP_1) | instskip(SKIP_1) | instid1(VALU_DEP_1)
	v_lshrrev_b32_e32 v45, 31, v44
	v_ashrrev_i32_e32 v44, 1, v44
	v_add_nc_u32_e32 v44, v44, v45
	s_delay_alu instid0(VALU_DEP_1)
	v_cmpx_eq_u32_e64 v14, v44
	s_cbranch_execz .LBB16_81
; %bb.78:                               ;   in Loop: Header=BB16_75 Depth=1
	v_sub_nc_u32_e32 v44, v43, v15
	s_mov_b32 s24, exec_lo
	s_delay_alu instid0(VALU_DEP_1)
	v_cmp_eq_u32_e32 vcc_lo, 1, v44
	v_cmp_eq_u32_e64 s3, 2, v44
	v_cmp_eq_u32_e64 s4, 3, v44
	;; [unrolled: 1-line block ×10, first 2 shown]
	v_cmpx_gt_u32_e32 12, v44
	s_cbranch_execz .LBB16_80
; %bb.79:                               ;   in Loop: Header=BB16_75 Depth=1
	v_cndmask_b32_e32 v45, v16, v18, vcc_lo
	s_delay_alu instid0(VALU_DEP_1) | instskip(NEXT) | instid1(VALU_DEP_1)
	v_cndmask_b32_e64 v45, v45, v17, s3
	v_cndmask_b32_e64 v45, v45, v20, s4
	s_delay_alu instid0(VALU_DEP_1) | instskip(NEXT) | instid1(VALU_DEP_1)
	v_cndmask_b32_e64 v45, v45, v19, s5
	v_cndmask_b32_e64 v45, v45, v21, s6
	s_delay_alu instid0(VALU_DEP_1) | instskip(NEXT) | instid1(VALU_DEP_1)
	v_cndmask_b32_e64 v45, v45, v6, s7
	v_cndmask_b32_e64 v45, v45, v23, s8
	s_delay_alu instid0(VALU_DEP_1) | instskip(NEXT) | instid1(VALU_DEP_1)
	v_cndmask_b32_e64 v45, v45, v7, s9
	v_cndmask_b32_e64 v45, v45, v24, s10
	s_delay_alu instid0(VALU_DEP_1) | instskip(NEXT) | instid1(VALU_DEP_1)
	v_cndmask_b32_e64 v45, v45, v12, s11
	v_cndmask_b32_e64 v45, v45, v13, s12
	flat_store_b32 v[4:5], v45
.LBB16_80:                              ;   in Loop: Header=BB16_75 Depth=1
	s_or_b32 exec_lo, exec_lo, s24
	v_cmp_ne_u32_e64 s13, 0, v44
	v_cndmask_b32_e64 v26, v26, 0xff7fffff, vcc_lo
	v_cndmask_b32_e64 v27, v27, 0xff7fffff, s3
	v_cndmask_b32_e64 v28, v28, 0xff7fffff, s4
	;; [unrolled: 1-line block ×11, first 2 shown]
	global_store_b32 v[2:3], v43, off
.LBB16_81:                              ;   in Loop: Header=BB16_75 Depth=1
	s_or_b32 exec_lo, exec_lo, s19
	s_waitcnt lgkmcnt(0)
	s_waitcnt_vscnt null, 0x0
	s_barrier
	buffer_gl0_inv
	s_and_saveexec_b32 s3, s2
	s_cbranch_execz .LBB16_74
; %bb.82:                               ;   in Loop: Header=BB16_75 Depth=1
	flat_load_b32 v43, v[4:5]
	s_waitcnt vmcnt(0) lgkmcnt(0)
	v_add_f32_e32 v10, v10, v43
	s_branch .LBB16_74
.LBB16_83:
	v_mov_b32_e32 v10, 0
.LBB16_84:
	v_cmp_gt_i64_e64 s3, s[30:31], 0
	v_cmp_eq_u32_e64 s2, 0, v14
	s_delay_alu instid0(VALU_DEP_1) | instskip(NEXT) | instid1(SALU_CYCLE_1)
	s_and_b32 s4, s2, s3
	s_and_saveexec_b32 s3, s4
	s_cbranch_execz .LBB16_90
; %bb.85:
	v_dual_mov_b32 v2, v8 :: v_dual_mov_b32 v3, v9
	s_mov_b32 s4, exec_lo
	v_cmpx_le_u64_e64 s[30:31], v[8:9]
	s_cbranch_execz .LBB16_87
; %bb.86:
	v_cvt_f32_u32_e32 v2, s30
	s_sub_i32 s5, 0, s30
	s_delay_alu instid0(VALU_DEP_1) | instskip(SKIP_2) | instid1(VALU_DEP_1)
	v_rcp_iflag_f32_e32 v2, v2
	s_waitcnt_depctr 0xfff
	v_mul_f32_e32 v2, 0x4f7ffffe, v2
	v_cvt_u32_f32_e32 v2, v2
	s_delay_alu instid0(VALU_DEP_1) | instskip(NEXT) | instid1(VALU_DEP_1)
	v_mul_lo_u32 v3, s5, v2
	v_mul_hi_u32 v3, v2, v3
	s_delay_alu instid0(VALU_DEP_1) | instskip(NEXT) | instid1(VALU_DEP_1)
	v_add_nc_u32_e32 v2, v2, v3
	v_mul_hi_u32 v2, v8, v2
	s_delay_alu instid0(VALU_DEP_1) | instskip(NEXT) | instid1(VALU_DEP_1)
	v_mul_lo_u32 v2, v2, s30
	v_sub_nc_u32_e32 v2, v8, v2
	s_delay_alu instid0(VALU_DEP_1) | instskip(SKIP_1) | instid1(VALU_DEP_2)
	v_subrev_nc_u32_e32 v3, s30, v2
	v_cmp_le_u32_e32 vcc_lo, s30, v2
	v_cndmask_b32_e32 v2, v2, v3, vcc_lo
	s_delay_alu instid0(VALU_DEP_1) | instskip(SKIP_1) | instid1(VALU_DEP_2)
	v_subrev_nc_u32_e32 v3, s30, v2
	v_cmp_le_u32_e32 vcc_lo, s30, v2
	v_dual_cndmask_b32 v2, v2, v3 :: v_dual_mov_b32 v3, 0
.LBB16_87:
	s_or_b32 exec_lo, exec_lo, s4
	v_cvt_f64_f32_e32 v[4:5], v10
	s_load_b64 s[0:1], s[0:1], 0x40
	s_waitcnt lgkmcnt(0)
	s_delay_alu instid0(VALU_DEP_1) | instskip(SKIP_1) | instid1(VALU_DEP_2)
	v_div_scale_f64 v[6:7], null, s[0:1], s[0:1], v[4:5]
	v_div_scale_f64 v[15:16], vcc_lo, v[4:5], s[0:1], v[4:5]
	v_rcp_f64_e32 v[11:12], v[6:7]
	s_waitcnt_depctr 0xfff
	v_fma_f64 v[13:14], -v[6:7], v[11:12], 1.0
	s_delay_alu instid0(VALU_DEP_1) | instskip(NEXT) | instid1(VALU_DEP_1)
	v_fma_f64 v[11:12], v[11:12], v[13:14], v[11:12]
	v_fma_f64 v[13:14], -v[6:7], v[11:12], 1.0
	s_delay_alu instid0(VALU_DEP_1) | instskip(NEXT) | instid1(VALU_DEP_1)
	v_fma_f64 v[11:12], v[11:12], v[13:14], v[11:12]
	v_mul_f64 v[13:14], v[15:16], v[11:12]
	s_delay_alu instid0(VALU_DEP_1) | instskip(NEXT) | instid1(VALU_DEP_1)
	v_fma_f64 v[6:7], -v[6:7], v[13:14], v[15:16]
	v_div_fmas_f64 v[6:7], v[6:7], v[11:12], v[13:14]
	v_add_nc_u32_e32 v13, 0x60, v2
	s_delay_alu instid0(VALU_DEP_2) | instskip(SKIP_2) | instid1(VALU_DEP_2)
	v_div_fixup_f64 v[4:5], v[6:7], s[0:1], v[4:5]
	v_mad_u64_u32 v[6:7], null, s18, v8, s[14:15]
	s_ashr_i32 s0, s18, 31
	v_cvt_f32_f64_e32 v9, v[4:5]
	s_delay_alu instid0(VALU_DEP_2) | instskip(NEXT) | instid1(VALU_DEP_1)
	v_mov_b32_e32 v4, v7
	v_mad_u64_u32 v[11:12], null, s0, v8, v[4:5]
	v_cmp_lt_u64_e64 s0, s[30:31], 2
	s_delay_alu instid0(VALU_DEP_2) | instskip(NEXT) | instid1(VALU_DEP_1)
	v_mov_b32_e32 v7, v11
	v_lshlrev_b64 v[4:5], 2, v[6:7]
	s_delay_alu instid0(VALU_DEP_1) | instskip(NEXT) | instid1(VALU_DEP_2)
	v_add_co_u32 v6, vcc_lo, s22, v4
	v_add_co_ci_u32_e32 v7, vcc_lo, s23, v5, vcc_lo
	v_add_co_u32 v11, vcc_lo, s20, v4
	v_add_co_ci_u32_e32 v12, vcc_lo, s21, v5, vcc_lo
	s_and_b32 vcc_lo, exec_lo, s0
	global_store_b32 v[6:7], v13, off
	global_store_b32 v[11:12], v9, off
	s_cbranch_vccnz .LBB16_90
; %bb.88:
	v_add_co_u32 v6, vcc_lo, v4, 4
	v_add_co_ci_u32_e32 v7, vcc_lo, 0, v5, vcc_lo
	s_mov_b64 s[0:1], 1
	s_delay_alu instid0(VALU_DEP_2) | instskip(NEXT) | instid1(VALU_DEP_2)
	v_add_co_u32 v4, vcc_lo, s20, v6
	v_add_co_ci_u32_e32 v5, vcc_lo, s21, v7, vcc_lo
	v_add_co_u32 v6, vcc_lo, s22, v6
	v_add_co_ci_u32_e32 v7, vcc_lo, s23, v7, vcc_lo
	.p2align	6
.LBB16_89:                              ; =>This Inner Loop Header: Depth=1
	s_delay_alu instid0(VALU_DEP_2)
	v_add_co_u32 v11, vcc_lo, v2, 1
	v_add_co_ci_u32_e32 v12, vcc_lo, 0, v3, vcc_lo
	v_add_nc_u32_e32 v2, 0x61, v2
	s_add_u32 s0, s0, 1
	global_store_b32 v[4:5], v9, off
	v_add_co_u32 v4, vcc_lo, v4, 4
	s_addc_u32 s1, s1, 0
	v_add_co_ci_u32_e32 v5, vcc_lo, 0, v5, vcc_lo
	v_cmp_lt_u64_e64 s4, s[0:1], s[30:31]
	global_store_b32 v[6:7], v2, off
	v_add_co_u32 v6, vcc_lo, v6, 4
	v_dual_mov_b32 v2, v11 :: v_dual_mov_b32 v3, v12
	v_add_co_ci_u32_e32 v7, vcc_lo, 0, v7, vcc_lo
	s_and_b32 vcc_lo, exec_lo, s4
	s_cbranch_vccnz .LBB16_89
.LBB16_90:
	s_or_b32 exec_lo, exec_lo, s3
	v_cmp_gt_i64_e64 s3, s[28:29], 0
	s_mov_b64 s[0:1], 0
	s_waitcnt lgkmcnt(0)
	s_waitcnt_vscnt null, 0x0
	s_barrier
	buffer_gl0_inv
	s_and_b32 s2, s2, s3
	s_delay_alu instid0(SALU_CYCLE_1)
	s_and_b32 exec_lo, exec_lo, s2
	s_cbranch_execz .LBB16_97
; %bb.91:
	v_mad_u64_u32 v[2:3], null, s18, v8, 0
	s_ashr_i32 s2, s18, 31
	s_delay_alu instid0(VALU_DEP_1) | instid1(SALU_CYCLE_1)
	v_mad_u64_u32 v[4:5], null, s2, v8, v[3:4]
	v_cmp_lt_u64_e64 s2, s[28:29], 8
	s_delay_alu instid0(VALU_DEP_2) | instskip(NEXT) | instid1(VALU_DEP_1)
	v_mov_b32_e32 v3, v4
	v_lshlrev_b64 v[2:3], 2, v[2:3]
	s_delay_alu instid0(VALU_DEP_1) | instskip(NEXT) | instid1(VALU_DEP_2)
	v_add_co_u32 v2, vcc_lo, s20, v2
	v_add_co_ci_u32_e32 v3, vcc_lo, s21, v3, vcc_lo
	s_and_b32 vcc_lo, exec_lo, s2
	s_cbranch_vccnz .LBB16_94
; %bb.92:
	s_and_b32 s1, s29, 0x7fffffff
	s_and_b32 s0, s28, -8
	s_mov_b64 s[2:3], 0
	s_mov_b64 s[4:5], s[0:1]
.LBB16_93:                              ; =>This Inner Loop Header: Depth=1
	v_add_co_u32 v4, vcc_lo, v0, s2
	v_add_co_ci_u32_e32 v5, vcc_lo, s3, v1, vcc_lo
	flat_load_b32 v8, v[4:5]
	s_waitcnt vmcnt(0) lgkmcnt(0)
	v_div_scale_f32 v6, null, v10, v10, v8
	v_div_scale_f32 v11, vcc_lo, v8, v10, v8
	s_delay_alu instid0(VALU_DEP_2) | instskip(SKIP_2) | instid1(VALU_DEP_1)
	v_rcp_f32_e32 v7, v6
	s_waitcnt_depctr 0xfff
	v_fma_f32 v9, -v6, v7, 1.0
	v_fmac_f32_e32 v7, v9, v7
	s_delay_alu instid0(VALU_DEP_1) | instskip(NEXT) | instid1(VALU_DEP_1)
	v_mul_f32_e32 v9, v11, v7
	v_fma_f32 v12, -v6, v9, v11
	s_delay_alu instid0(VALU_DEP_1) | instskip(NEXT) | instid1(VALU_DEP_1)
	v_fmac_f32_e32 v9, v12, v7
	v_fma_f32 v6, -v6, v9, v11
	s_delay_alu instid0(VALU_DEP_1) | instskip(SKIP_2) | instid1(VALU_DEP_3)
	v_div_fmas_f32 v9, v6, v7, v9
	v_add_co_u32 v6, vcc_lo, v2, s2
	v_add_co_ci_u32_e32 v7, vcc_lo, s3, v3, vcc_lo
	v_div_fixup_f32 v8, v9, v10, v8
	s_add_u32 s2, s2, 32
	s_addc_u32 s3, s3, 0
	s_add_u32 s4, s4, -8
	s_addc_u32 s5, s5, -1
	global_store_b32 v[6:7], v8, off
	flat_load_b32 v8, v[4:5] offset:4
	s_cmp_lg_u64 s[4:5], 0
	s_waitcnt vmcnt(0) lgkmcnt(0)
	v_div_scale_f32 v9, null, v10, v10, v8
	v_div_scale_f32 v13, vcc_lo, v8, v10, v8
	s_delay_alu instid0(VALU_DEP_2) | instskip(SKIP_2) | instid1(VALU_DEP_1)
	v_rcp_f32_e32 v11, v9
	s_waitcnt_depctr 0xfff
	v_fma_f32 v12, -v9, v11, 1.0
	v_fmac_f32_e32 v11, v12, v11
	s_delay_alu instid0(VALU_DEP_1) | instskip(NEXT) | instid1(VALU_DEP_1)
	v_mul_f32_e32 v12, v13, v11
	v_fma_f32 v14, -v9, v12, v13
	s_delay_alu instid0(VALU_DEP_1) | instskip(NEXT) | instid1(VALU_DEP_1)
	v_fmac_f32_e32 v12, v14, v11
	v_fma_f32 v9, -v9, v12, v13
	s_delay_alu instid0(VALU_DEP_1) | instskip(NEXT) | instid1(VALU_DEP_1)
	v_div_fmas_f32 v9, v9, v11, v12
	v_div_fixup_f32 v8, v9, v10, v8
	global_store_b32 v[6:7], v8, off offset:4
	flat_load_b32 v8, v[4:5] offset:8
	s_waitcnt vmcnt(0) lgkmcnt(0)
	v_div_scale_f32 v9, null, v10, v10, v8
	v_div_scale_f32 v13, vcc_lo, v8, v10, v8
	s_delay_alu instid0(VALU_DEP_2) | instskip(SKIP_2) | instid1(VALU_DEP_1)
	v_rcp_f32_e32 v11, v9
	s_waitcnt_depctr 0xfff
	v_fma_f32 v12, -v9, v11, 1.0
	v_fmac_f32_e32 v11, v12, v11
	s_delay_alu instid0(VALU_DEP_1) | instskip(NEXT) | instid1(VALU_DEP_1)
	v_mul_f32_e32 v12, v13, v11
	v_fma_f32 v14, -v9, v12, v13
	s_delay_alu instid0(VALU_DEP_1) | instskip(NEXT) | instid1(VALU_DEP_1)
	v_fmac_f32_e32 v12, v14, v11
	v_fma_f32 v9, -v9, v12, v13
	s_delay_alu instid0(VALU_DEP_1) | instskip(NEXT) | instid1(VALU_DEP_1)
	v_div_fmas_f32 v9, v9, v11, v12
	v_div_fixup_f32 v8, v9, v10, v8
	global_store_b32 v[6:7], v8, off offset:8
	flat_load_b32 v8, v[4:5] offset:12
	;; [unrolled: 19-line block ×6, first 2 shown]
	s_waitcnt vmcnt(0) lgkmcnt(0)
	v_div_scale_f32 v5, null, v10, v10, v4
	v_div_scale_f32 v11, vcc_lo, v4, v10, v4
	s_delay_alu instid0(VALU_DEP_2) | instskip(SKIP_2) | instid1(VALU_DEP_1)
	v_rcp_f32_e32 v8, v5
	s_waitcnt_depctr 0xfff
	v_fma_f32 v9, -v5, v8, 1.0
	v_fmac_f32_e32 v8, v9, v8
	s_delay_alu instid0(VALU_DEP_1) | instskip(NEXT) | instid1(VALU_DEP_1)
	v_mul_f32_e32 v9, v11, v8
	v_fma_f32 v12, -v5, v9, v11
	s_delay_alu instid0(VALU_DEP_1) | instskip(NEXT) | instid1(VALU_DEP_1)
	v_fmac_f32_e32 v9, v12, v8
	v_fma_f32 v5, -v5, v9, v11
	s_delay_alu instid0(VALU_DEP_1) | instskip(NEXT) | instid1(VALU_DEP_1)
	v_div_fmas_f32 v5, v5, v8, v9
	v_div_fixup_f32 v4, v5, v10, v4
	global_store_b32 v[6:7], v4, off offset:28
	s_cbranch_scc1 .LBB16_93
.LBB16_94:
	s_and_b32 s2, s28, 7
	s_mov_b32 s3, 0
	s_delay_alu instid0(SALU_CYCLE_1)
	s_cmp_eq_u64 s[2:3], 0
	s_cbranch_scc1 .LBB16_97
; %bb.95:
	s_mov_b64 s[4:5], s[2:3]
	s_set_inst_prefetch_distance 0x1
	.p2align	6
.LBB16_96:                              ; =>This Inner Loop Header: Depth=1
	s_lshl_b64 s[6:7], s[0:1], 2
	s_add_i32 s2, s0, 1
	v_add_co_u32 v4, vcc_lo, v0, s6
	v_add_co_ci_u32_e32 v5, vcc_lo, s7, v1, vcc_lo
	s_add_u32 s4, s4, -1
	s_addc_u32 s5, s5, -1
	s_mov_b64 s[0:1], s[2:3]
	flat_load_b32 v6, v[4:5]
	s_cmp_lg_u64 s[4:5], 0
	s_waitcnt vmcnt(0) lgkmcnt(0)
	v_div_scale_f32 v4, null, v10, v10, v6
	v_div_scale_f32 v8, vcc_lo, v6, v10, v6
	s_delay_alu instid0(VALU_DEP_2) | instskip(SKIP_2) | instid1(VALU_DEP_1)
	v_rcp_f32_e32 v5, v4
	s_waitcnt_depctr 0xfff
	v_fma_f32 v7, -v4, v5, 1.0
	v_fmac_f32_e32 v5, v7, v5
	s_delay_alu instid0(VALU_DEP_1) | instskip(NEXT) | instid1(VALU_DEP_1)
	v_mul_f32_e32 v7, v8, v5
	v_fma_f32 v9, -v4, v7, v8
	s_delay_alu instid0(VALU_DEP_1) | instskip(NEXT) | instid1(VALU_DEP_1)
	v_fmac_f32_e32 v7, v9, v5
	v_fma_f32 v4, -v4, v7, v8
	s_delay_alu instid0(VALU_DEP_1) | instskip(SKIP_2) | instid1(VALU_DEP_3)
	v_div_fmas_f32 v7, v4, v5, v7
	v_add_co_u32 v4, vcc_lo, v2, s6
	v_add_co_ci_u32_e32 v5, vcc_lo, s7, v3, vcc_lo
	v_div_fixup_f32 v6, v7, v10, v6
	global_store_b32 v[4:5], v6, off
	s_cbranch_scc1 .LBB16_96
.LBB16_97:
	s_set_inst_prefetch_distance 0x2
	s_nop 0
	s_sendmsg sendmsg(MSG_DEALLOC_VGPRS)
	s_endpgm
	.section	.rodata,"a",@progbits
	.p2align	6, 0x0
	.amdhsa_kernel _Z21moe_fused_gate_kernelItLi12ELi96ELi8ELi1EEvPvS0_PfPilllldi
		.amdhsa_group_segment_fixed_size 0
		.amdhsa_private_segment_fixed_size 0
		.amdhsa_kernarg_size 76
		.amdhsa_user_sgpr_count 15
		.amdhsa_user_sgpr_dispatch_ptr 0
		.amdhsa_user_sgpr_queue_ptr 0
		.amdhsa_user_sgpr_kernarg_segment_ptr 1
		.amdhsa_user_sgpr_dispatch_id 0
		.amdhsa_user_sgpr_private_segment_size 0
		.amdhsa_wavefront_size32 1
		.amdhsa_uses_dynamic_stack 0
		.amdhsa_enable_private_segment 0
		.amdhsa_system_sgpr_workgroup_id_x 1
		.amdhsa_system_sgpr_workgroup_id_y 0
		.amdhsa_system_sgpr_workgroup_id_z 0
		.amdhsa_system_sgpr_workgroup_info 0
		.amdhsa_system_vgpr_workitem_id 1
		.amdhsa_next_free_vgpr 48
		.amdhsa_next_free_sgpr 32
		.amdhsa_reserve_vcc 1
		.amdhsa_float_round_mode_32 0
		.amdhsa_float_round_mode_16_64 0
		.amdhsa_float_denorm_mode_32 3
		.amdhsa_float_denorm_mode_16_64 3
		.amdhsa_dx10_clamp 1
		.amdhsa_ieee_mode 1
		.amdhsa_fp16_overflow 0
		.amdhsa_workgroup_processor_mode 1
		.amdhsa_memory_ordered 1
		.amdhsa_forward_progress 0
		.amdhsa_shared_vgpr_count 0
		.amdhsa_exception_fp_ieee_invalid_op 0
		.amdhsa_exception_fp_denorm_src 0
		.amdhsa_exception_fp_ieee_div_zero 0
		.amdhsa_exception_fp_ieee_overflow 0
		.amdhsa_exception_fp_ieee_underflow 0
		.amdhsa_exception_fp_ieee_inexact 0
		.amdhsa_exception_int_div_zero 0
	.end_amdhsa_kernel
	.section	.text._Z21moe_fused_gate_kernelItLi12ELi96ELi8ELi1EEvPvS0_PfPilllldi,"axG",@progbits,_Z21moe_fused_gate_kernelItLi12ELi96ELi8ELi1EEvPvS0_PfPilllldi,comdat
.Lfunc_end16:
	.size	_Z21moe_fused_gate_kernelItLi12ELi96ELi8ELi1EEvPvS0_PfPilllldi, .Lfunc_end16-_Z21moe_fused_gate_kernelItLi12ELi96ELi8ELi1EEvPvS0_PfPilllldi
                                        ; -- End function
	.section	.AMDGPU.csdata,"",@progbits
; Kernel info:
; codeLenInByte = 7052
; NumSgprs: 34
; NumVgprs: 48
; ScratchSize: 0
; MemoryBound: 0
; FloatMode: 240
; IeeeMode: 1
; LDSByteSize: 0 bytes/workgroup (compile time only)
; SGPRBlocks: 4
; VGPRBlocks: 5
; NumSGPRsForWavesPerEU: 34
; NumVGPRsForWavesPerEU: 48
; Occupancy: 16
; WaveLimiterHint : 0
; COMPUTE_PGM_RSRC2:SCRATCH_EN: 0
; COMPUTE_PGM_RSRC2:USER_SGPR: 15
; COMPUTE_PGM_RSRC2:TRAP_HANDLER: 0
; COMPUTE_PGM_RSRC2:TGID_X_EN: 1
; COMPUTE_PGM_RSRC2:TGID_Y_EN: 0
; COMPUTE_PGM_RSRC2:TGID_Z_EN: 0
; COMPUTE_PGM_RSRC2:TIDIG_COMP_CNT: 1
	.section	.text._Z21moe_fused_gate_kernelIDF16_Li12ELi96ELi8ELi1EEvPvS0_PfPilllldi,"axG",@progbits,_Z21moe_fused_gate_kernelIDF16_Li12ELi96ELi8ELi1EEvPvS0_PfPilllldi,comdat
	.protected	_Z21moe_fused_gate_kernelIDF16_Li12ELi96ELi8ELi1EEvPvS0_PfPilllldi ; -- Begin function _Z21moe_fused_gate_kernelIDF16_Li12ELi96ELi8ELi1EEvPvS0_PfPilllldi
	.globl	_Z21moe_fused_gate_kernelIDF16_Li12ELi96ELi8ELi1EEvPvS0_PfPilllldi
	.p2align	8
	.type	_Z21moe_fused_gate_kernelIDF16_Li12ELi96ELi8ELi1EEvPvS0_PfPilllldi,@function
_Z21moe_fused_gate_kernelIDF16_Li12ELi96ELi8ELi1EEvPvS0_PfPilllldi: ; @_Z21moe_fused_gate_kernelIDF16_Li12ELi96ELi8ELi1EEvPvS0_PfPilllldi
; %bb.0:
	s_load_b512 s[16:31], s[0:1], 0x0
	v_bfe_u32 v1, v0, 10, 10
	s_mov_b32 s2, exec_lo
	v_mov_b32_e32 v16, 0
	v_and_b32_e32 v0, 0x3ff, v0
	s_delay_alu instid0(VALU_DEP_3) | instskip(NEXT) | instid1(VALU_DEP_3)
	v_add_nc_u32_e32 v1, s15, v1
	v_mov_b32_e32 v9, v16
	s_delay_alu instid0(VALU_DEP_3) | instskip(NEXT) | instid1(VALU_DEP_1)
	v_lshrrev_b32_e32 v22, 3, v0
	v_lshl_add_u32 v8, v1, 2, v22
	s_waitcnt lgkmcnt(0)
	s_delay_alu instid0(VALU_DEP_1)
	v_cmpx_gt_i64_e64 s[24:25], v[8:9]
	s_cbranch_execz .LBB17_97
; %bb.1:
	v_and_b32_e32 v14, 7, v0
	v_mad_u64_u32 v[0:1], null, 0xc0, v8, s[16:17]
	s_mov_b32 s2, exec_lo
	s_delay_alu instid0(VALU_DEP_2) | instskip(NEXT) | instid1(VALU_DEP_1)
	v_mul_u32_u24_e32 v15, 12, v14
	v_lshlrev_b32_e32 v2, 1, v15
	s_delay_alu instid0(VALU_DEP_1) | instskip(NEXT) | instid1(VALU_DEP_4)
	v_add_co_u32 v0, vcc_lo, v0, v2
	v_add_co_ci_u32_e32 v1, vcc_lo, 0, v1, vcc_lo
	s_clause 0x1
	global_load_b128 v[4:7], v[0:1], off
	global_load_b64 v[12:13], v[0:1], off offset:16
	s_clause 0x1
	global_load_b64 v[10:11], v2, s[18:19] offset:16
	global_load_b128 v[0:3], v2, s[18:19]
	s_waitcnt vmcnt(3)
	v_cmpx_o_f16_e32 v4, v4
	s_cbranch_execz .LBB17_3
; %bb.2:
	v_cvt_f32_f16_e64 v16, -v4
	s_mov_b32 s3, 0x3fb8aa3b
	s_delay_alu instid0(VALU_DEP_1) | instskip(SKIP_1) | instid1(VALU_DEP_2)
	v_mul_f32_e32 v17, 0x3fb8aa3b, v16
	v_cmp_ngt_f32_e32 vcc_lo, 0xc2ce8ed0, v16
	v_rndne_f32_e32 v18, v17
	v_fma_mix_f32 v19, -v4, s3, -v17 op_sel_hi:[1,0,0]
	s_mov_b32 s3, 0x32a5705f
	s_delay_alu instid0(VALU_DEP_2) | instskip(NEXT) | instid1(VALU_DEP_2)
	v_sub_f32_e32 v17, v17, v18
	v_fma_mix_f32 v19, -v4, s3, v19 op_sel_hi:[1,0,0]
	v_cvt_i32_f32_e32 v18, v18
	s_delay_alu instid0(VALU_DEP_2) | instskip(NEXT) | instid1(VALU_DEP_1)
	v_add_f32_e32 v17, v17, v19
	v_exp_f32_e32 v17, v17
	s_waitcnt_depctr 0xfff
	v_ldexp_f32 v17, v17, v18
	s_delay_alu instid0(VALU_DEP_1) | instskip(SKIP_1) | instid1(VALU_DEP_2)
	v_cndmask_b32_e32 v17, 0, v17, vcc_lo
	v_cmp_nlt_f32_e32 vcc_lo, 0x42b17218, v16
	v_cndmask_b32_e32 v16, 0x7f800000, v17, vcc_lo
	s_delay_alu instid0(VALU_DEP_1) | instskip(NEXT) | instid1(VALU_DEP_1)
	v_add_f32_e32 v16, 1.0, v16
	v_div_scale_f32 v17, null, v16, v16, 1.0
	s_delay_alu instid0(VALU_DEP_1) | instskip(SKIP_2) | instid1(VALU_DEP_1)
	v_rcp_f32_e32 v18, v17
	s_waitcnt_depctr 0xfff
	v_fma_f32 v19, -v17, v18, 1.0
	v_fmac_f32_e32 v18, v19, v18
	v_div_scale_f32 v19, vcc_lo, 1.0, v16, 1.0
	s_delay_alu instid0(VALU_DEP_1) | instskip(NEXT) | instid1(VALU_DEP_1)
	v_mul_f32_e32 v20, v19, v18
	v_fma_f32 v21, -v17, v20, v19
	s_delay_alu instid0(VALU_DEP_1) | instskip(NEXT) | instid1(VALU_DEP_1)
	v_fmac_f32_e32 v20, v21, v18
	v_fma_f32 v17, -v17, v20, v19
	s_delay_alu instid0(VALU_DEP_1) | instskip(NEXT) | instid1(VALU_DEP_1)
	v_div_fmas_f32 v17, v17, v18, v20
	v_div_fixup_f32 v16, v17, v16, 1.0
.LBB17_3:
	s_or_b32 exec_lo, exec_lo, s2
	v_lshrrev_b32_e32 v4, 16, v4
	v_dual_mov_b32 v17, 0 :: v_dual_mov_b32 v18, 0
	s_mov_b32 s2, exec_lo
	s_delay_alu instid0(VALU_DEP_2)
	v_cmpx_o_f16_e32 v4, v4
	s_cbranch_execz .LBB17_5
; %bb.4:
	v_cvt_f32_f16_e64 v18, -v4
	s_mov_b32 s3, 0x3fb8aa3b
	s_delay_alu instid0(VALU_DEP_1) | instskip(SKIP_1) | instid1(VALU_DEP_1)
	v_cmp_ngt_f32_e32 vcc_lo, 0xc2ce8ed0, v18
	v_mul_f32_e32 v19, 0x3fb8aa3b, v18
	v_rndne_f32_e32 v20, v19
	v_fma_mix_f32 v21, -v4, s3, -v19 op_sel_hi:[1,0,0]
	s_mov_b32 s3, 0x32a5705f
	s_delay_alu instid0(VALU_DEP_2) | instskip(NEXT) | instid1(VALU_DEP_2)
	v_sub_f32_e32 v19, v19, v20
	v_fma_mix_f32 v4, -v4, s3, v21 op_sel_hi:[1,0,0]
	s_delay_alu instid0(VALU_DEP_1) | instskip(SKIP_1) | instid1(VALU_DEP_2)
	v_add_f32_e32 v4, v19, v4
	v_cvt_i32_f32_e32 v19, v20
	v_exp_f32_e32 v4, v4
	s_waitcnt_depctr 0xfff
	v_ldexp_f32 v4, v4, v19
	s_delay_alu instid0(VALU_DEP_1) | instskip(SKIP_1) | instid1(VALU_DEP_2)
	v_cndmask_b32_e32 v4, 0, v4, vcc_lo
	v_cmp_nlt_f32_e32 vcc_lo, 0x42b17218, v18
	v_cndmask_b32_e32 v4, 0x7f800000, v4, vcc_lo
	s_delay_alu instid0(VALU_DEP_1) | instskip(NEXT) | instid1(VALU_DEP_1)
	v_add_f32_e32 v4, 1.0, v4
	v_div_scale_f32 v18, null, v4, v4, 1.0
	s_delay_alu instid0(VALU_DEP_1) | instskip(SKIP_2) | instid1(VALU_DEP_1)
	v_rcp_f32_e32 v19, v18
	s_waitcnt_depctr 0xfff
	v_fma_f32 v20, -v18, v19, 1.0
	v_fmac_f32_e32 v19, v20, v19
	v_div_scale_f32 v20, vcc_lo, 1.0, v4, 1.0
	s_delay_alu instid0(VALU_DEP_1) | instskip(NEXT) | instid1(VALU_DEP_1)
	v_mul_f32_e32 v21, v20, v19
	v_fma_f32 v23, -v18, v21, v20
	s_delay_alu instid0(VALU_DEP_1) | instskip(NEXT) | instid1(VALU_DEP_1)
	v_fmac_f32_e32 v21, v23, v19
	v_fma_f32 v18, -v18, v21, v20
	s_delay_alu instid0(VALU_DEP_1) | instskip(NEXT) | instid1(VALU_DEP_1)
	v_div_fmas_f32 v18, v18, v19, v21
	v_div_fixup_f32 v18, v18, v4, 1.0
.LBB17_5:
	s_or_b32 exec_lo, exec_lo, s2
	s_delay_alu instid0(SALU_CYCLE_1)
	s_mov_b32 s2, exec_lo
	v_cmpx_o_f16_e32 v5, v5
	s_cbranch_execz .LBB17_7
; %bb.6:
	v_cvt_f32_f16_e64 v4, -v5
	s_mov_b32 s3, 0x3fb8aa3b
	s_delay_alu instid0(VALU_DEP_1) | instskip(SKIP_1) | instid1(VALU_DEP_2)
	v_mul_f32_e32 v17, 0x3fb8aa3b, v4
	v_cmp_ngt_f32_e32 vcc_lo, 0xc2ce8ed0, v4
	v_rndne_f32_e32 v19, v17
	v_fma_mix_f32 v20, -v5, s3, -v17 op_sel_hi:[1,0,0]
	s_mov_b32 s3, 0x32a5705f
	s_delay_alu instid0(VALU_DEP_2) | instskip(NEXT) | instid1(VALU_DEP_2)
	v_sub_f32_e32 v17, v17, v19
	v_fma_mix_f32 v20, -v5, s3, v20 op_sel_hi:[1,0,0]
	v_cvt_i32_f32_e32 v19, v19
	s_delay_alu instid0(VALU_DEP_2) | instskip(NEXT) | instid1(VALU_DEP_1)
	v_add_f32_e32 v17, v17, v20
	v_exp_f32_e32 v17, v17
	s_waitcnt_depctr 0xfff
	v_ldexp_f32 v17, v17, v19
	s_delay_alu instid0(VALU_DEP_1) | instskip(SKIP_1) | instid1(VALU_DEP_2)
	v_cndmask_b32_e32 v17, 0, v17, vcc_lo
	v_cmp_nlt_f32_e32 vcc_lo, 0x42b17218, v4
	v_cndmask_b32_e32 v4, 0x7f800000, v17, vcc_lo
	s_delay_alu instid0(VALU_DEP_1) | instskip(NEXT) | instid1(VALU_DEP_1)
	v_add_f32_e32 v4, 1.0, v4
	v_div_scale_f32 v17, null, v4, v4, 1.0
	s_delay_alu instid0(VALU_DEP_1) | instskip(SKIP_2) | instid1(VALU_DEP_1)
	v_rcp_f32_e32 v19, v17
	s_waitcnt_depctr 0xfff
	v_fma_f32 v20, -v17, v19, 1.0
	v_fmac_f32_e32 v19, v20, v19
	v_div_scale_f32 v20, vcc_lo, 1.0, v4, 1.0
	s_delay_alu instid0(VALU_DEP_1) | instskip(NEXT) | instid1(VALU_DEP_1)
	v_mul_f32_e32 v21, v20, v19
	v_fma_f32 v23, -v17, v21, v20
	s_delay_alu instid0(VALU_DEP_1) | instskip(NEXT) | instid1(VALU_DEP_1)
	v_fmac_f32_e32 v21, v23, v19
	v_fma_f32 v17, -v17, v21, v20
	s_delay_alu instid0(VALU_DEP_1) | instskip(NEXT) | instid1(VALU_DEP_1)
	v_div_fmas_f32 v17, v17, v19, v21
	v_div_fixup_f32 v17, v17, v4, 1.0
.LBB17_7:
	s_or_b32 exec_lo, exec_lo, s2
	v_lshrrev_b32_e32 v4, 16, v5
	v_dual_mov_b32 v19, 0 :: v_dual_mov_b32 v20, 0
	s_mov_b32 s2, exec_lo
	s_delay_alu instid0(VALU_DEP_2)
	v_cmpx_o_f16_e32 v4, v4
	s_cbranch_execz .LBB17_9
; %bb.8:
	v_cvt_f32_f16_e64 v5, -v4
	s_mov_b32 s3, 0x3fb8aa3b
	s_delay_alu instid0(VALU_DEP_1) | instskip(SKIP_1) | instid1(VALU_DEP_2)
	v_mul_f32_e32 v20, 0x3fb8aa3b, v5
	v_cmp_ngt_f32_e32 vcc_lo, 0xc2ce8ed0, v5
	v_rndne_f32_e32 v21, v20
	v_fma_mix_f32 v23, -v4, s3, -v20 op_sel_hi:[1,0,0]
	s_mov_b32 s3, 0x32a5705f
	s_delay_alu instid0(VALU_DEP_2) | instskip(NEXT) | instid1(VALU_DEP_2)
	v_sub_f32_e32 v20, v20, v21
	v_fma_mix_f32 v4, -v4, s3, v23 op_sel_hi:[1,0,0]
	s_delay_alu instid0(VALU_DEP_1) | instskip(SKIP_1) | instid1(VALU_DEP_2)
	v_add_f32_e32 v4, v20, v4
	v_cvt_i32_f32_e32 v20, v21
	v_exp_f32_e32 v4, v4
	s_waitcnt_depctr 0xfff
	v_ldexp_f32 v4, v4, v20
	s_delay_alu instid0(VALU_DEP_1) | instskip(SKIP_1) | instid1(VALU_DEP_2)
	v_cndmask_b32_e32 v4, 0, v4, vcc_lo
	v_cmp_nlt_f32_e32 vcc_lo, 0x42b17218, v5
	v_cndmask_b32_e32 v4, 0x7f800000, v4, vcc_lo
	s_delay_alu instid0(VALU_DEP_1) | instskip(NEXT) | instid1(VALU_DEP_1)
	v_add_f32_e32 v4, 1.0, v4
	v_div_scale_f32 v5, null, v4, v4, 1.0
	s_delay_alu instid0(VALU_DEP_1) | instskip(SKIP_2) | instid1(VALU_DEP_1)
	v_rcp_f32_e32 v20, v5
	s_waitcnt_depctr 0xfff
	v_fma_f32 v21, -v5, v20, 1.0
	v_fmac_f32_e32 v20, v21, v20
	v_div_scale_f32 v21, vcc_lo, 1.0, v4, 1.0
	s_delay_alu instid0(VALU_DEP_1) | instskip(NEXT) | instid1(VALU_DEP_1)
	v_mul_f32_e32 v23, v21, v20
	v_fma_f32 v24, -v5, v23, v21
	s_delay_alu instid0(VALU_DEP_1) | instskip(NEXT) | instid1(VALU_DEP_1)
	v_fmac_f32_e32 v23, v24, v20
	v_fma_f32 v5, -v5, v23, v21
	s_delay_alu instid0(VALU_DEP_1) | instskip(NEXT) | instid1(VALU_DEP_1)
	v_div_fmas_f32 v5, v5, v20, v23
	v_div_fixup_f32 v20, v5, v4, 1.0
.LBB17_9:
	s_or_b32 exec_lo, exec_lo, s2
	s_delay_alu instid0(SALU_CYCLE_1)
	s_mov_b32 s2, exec_lo
	v_cmpx_o_f16_e32 v6, v6
	s_cbranch_execz .LBB17_11
; %bb.10:
	v_cvt_f32_f16_e64 v4, -v6
	s_mov_b32 s3, 0x3fb8aa3b
	s_delay_alu instid0(VALU_DEP_1) | instskip(SKIP_1) | instid1(VALU_DEP_2)
	v_mul_f32_e32 v5, 0x3fb8aa3b, v4
	v_cmp_ngt_f32_e32 vcc_lo, 0xc2ce8ed0, v4
	v_rndne_f32_e32 v19, v5
	v_fma_mix_f32 v21, -v6, s3, -v5 op_sel_hi:[1,0,0]
	s_mov_b32 s3, 0x32a5705f
	s_delay_alu instid0(VALU_DEP_2) | instskip(NEXT) | instid1(VALU_DEP_2)
	v_sub_f32_e32 v5, v5, v19
	v_fma_mix_f32 v21, -v6, s3, v21 op_sel_hi:[1,0,0]
	v_cvt_i32_f32_e32 v19, v19
	s_delay_alu instid0(VALU_DEP_2) | instskip(NEXT) | instid1(VALU_DEP_1)
	v_add_f32_e32 v5, v5, v21
	v_exp_f32_e32 v5, v5
	s_waitcnt_depctr 0xfff
	v_ldexp_f32 v5, v5, v19
	s_delay_alu instid0(VALU_DEP_1) | instskip(SKIP_1) | instid1(VALU_DEP_2)
	v_cndmask_b32_e32 v5, 0, v5, vcc_lo
	v_cmp_nlt_f32_e32 vcc_lo, 0x42b17218, v4
	v_cndmask_b32_e32 v4, 0x7f800000, v5, vcc_lo
	s_delay_alu instid0(VALU_DEP_1) | instskip(NEXT) | instid1(VALU_DEP_1)
	v_add_f32_e32 v4, 1.0, v4
	v_div_scale_f32 v5, null, v4, v4, 1.0
	s_delay_alu instid0(VALU_DEP_1) | instskip(SKIP_2) | instid1(VALU_DEP_1)
	v_rcp_f32_e32 v19, v5
	s_waitcnt_depctr 0xfff
	v_fma_f32 v21, -v5, v19, 1.0
	v_fmac_f32_e32 v19, v21, v19
	v_div_scale_f32 v21, vcc_lo, 1.0, v4, 1.0
	s_delay_alu instid0(VALU_DEP_1) | instskip(NEXT) | instid1(VALU_DEP_1)
	v_mul_f32_e32 v23, v21, v19
	v_fma_f32 v24, -v5, v23, v21
	s_delay_alu instid0(VALU_DEP_1) | instskip(NEXT) | instid1(VALU_DEP_1)
	v_fmac_f32_e32 v23, v24, v19
	v_fma_f32 v5, -v5, v23, v21
	s_delay_alu instid0(VALU_DEP_1) | instskip(NEXT) | instid1(VALU_DEP_1)
	v_div_fmas_f32 v5, v5, v19, v23
	v_div_fixup_f32 v19, v5, v4, 1.0
.LBB17_11:
	s_or_b32 exec_lo, exec_lo, s2
	v_lshrrev_b32_e32 v4, 16, v6
	v_dual_mov_b32 v6, 0 :: v_dual_mov_b32 v21, 0
	s_mov_b32 s2, exec_lo
	s_delay_alu instid0(VALU_DEP_2)
	v_cmpx_o_f16_e32 v4, v4
	s_cbranch_execz .LBB17_13
; %bb.12:
	v_cvt_f32_f16_e64 v5, -v4
	s_mov_b32 s3, 0x3fb8aa3b
	s_delay_alu instid0(VALU_DEP_1) | instskip(SKIP_1) | instid1(VALU_DEP_1)
	v_cmp_ngt_f32_e32 vcc_lo, 0xc2ce8ed0, v5
	v_mul_f32_e32 v21, 0x3fb8aa3b, v5
	v_rndne_f32_e32 v23, v21
	v_fma_mix_f32 v24, -v4, s3, -v21 op_sel_hi:[1,0,0]
	s_mov_b32 s3, 0x32a5705f
	s_delay_alu instid0(VALU_DEP_2) | instskip(NEXT) | instid1(VALU_DEP_2)
	v_sub_f32_e32 v21, v21, v23
	v_fma_mix_f32 v4, -v4, s3, v24 op_sel_hi:[1,0,0]
	s_delay_alu instid0(VALU_DEP_1) | instskip(SKIP_1) | instid1(VALU_DEP_2)
	v_add_f32_e32 v4, v21, v4
	v_cvt_i32_f32_e32 v21, v23
	v_exp_f32_e32 v4, v4
	s_waitcnt_depctr 0xfff
	v_ldexp_f32 v4, v4, v21
	s_delay_alu instid0(VALU_DEP_1) | instskip(SKIP_1) | instid1(VALU_DEP_2)
	v_cndmask_b32_e32 v4, 0, v4, vcc_lo
	v_cmp_nlt_f32_e32 vcc_lo, 0x42b17218, v5
	v_cndmask_b32_e32 v4, 0x7f800000, v4, vcc_lo
	s_delay_alu instid0(VALU_DEP_1) | instskip(NEXT) | instid1(VALU_DEP_1)
	v_add_f32_e32 v4, 1.0, v4
	v_div_scale_f32 v5, null, v4, v4, 1.0
	s_delay_alu instid0(VALU_DEP_1) | instskip(SKIP_2) | instid1(VALU_DEP_1)
	v_rcp_f32_e32 v21, v5
	s_waitcnt_depctr 0xfff
	v_fma_f32 v23, -v5, v21, 1.0
	v_fmac_f32_e32 v21, v23, v21
	v_div_scale_f32 v23, vcc_lo, 1.0, v4, 1.0
	s_delay_alu instid0(VALU_DEP_1) | instskip(NEXT) | instid1(VALU_DEP_1)
	v_mul_f32_e32 v24, v23, v21
	v_fma_f32 v25, -v5, v24, v23
	s_delay_alu instid0(VALU_DEP_1) | instskip(NEXT) | instid1(VALU_DEP_1)
	v_fmac_f32_e32 v24, v25, v21
	v_fma_f32 v5, -v5, v24, v23
	s_delay_alu instid0(VALU_DEP_1) | instskip(NEXT) | instid1(VALU_DEP_1)
	v_div_fmas_f32 v5, v5, v21, v24
	v_div_fixup_f32 v21, v5, v4, 1.0
.LBB17_13:
	s_or_b32 exec_lo, exec_lo, s2
	s_delay_alu instid0(SALU_CYCLE_1)
	s_mov_b32 s2, exec_lo
	v_cmpx_o_f16_e32 v7, v7
	s_cbranch_execz .LBB17_15
; %bb.14:
	v_cvt_f32_f16_e64 v4, -v7
	s_mov_b32 s3, 0x3fb8aa3b
	s_delay_alu instid0(VALU_DEP_1) | instskip(SKIP_1) | instid1(VALU_DEP_2)
	v_mul_f32_e32 v5, 0x3fb8aa3b, v4
	v_cmp_ngt_f32_e32 vcc_lo, 0xc2ce8ed0, v4
	v_rndne_f32_e32 v6, v5
	v_fma_mix_f32 v23, -v7, s3, -v5 op_sel_hi:[1,0,0]
	s_mov_b32 s3, 0x32a5705f
	s_delay_alu instid0(VALU_DEP_2) | instskip(NEXT) | instid1(VALU_DEP_2)
	v_sub_f32_e32 v5, v5, v6
	v_fma_mix_f32 v23, -v7, s3, v23 op_sel_hi:[1,0,0]
	v_cvt_i32_f32_e32 v6, v6
	s_delay_alu instid0(VALU_DEP_2) | instskip(NEXT) | instid1(VALU_DEP_1)
	v_add_f32_e32 v5, v5, v23
	v_exp_f32_e32 v5, v5
	s_waitcnt_depctr 0xfff
	v_ldexp_f32 v5, v5, v6
	s_delay_alu instid0(VALU_DEP_1) | instskip(SKIP_1) | instid1(VALU_DEP_2)
	v_cndmask_b32_e32 v5, 0, v5, vcc_lo
	v_cmp_nlt_f32_e32 vcc_lo, 0x42b17218, v4
	v_cndmask_b32_e32 v4, 0x7f800000, v5, vcc_lo
	s_delay_alu instid0(VALU_DEP_1) | instskip(NEXT) | instid1(VALU_DEP_1)
	v_add_f32_e32 v4, 1.0, v4
	v_div_scale_f32 v5, null, v4, v4, 1.0
	s_delay_alu instid0(VALU_DEP_1) | instskip(SKIP_2) | instid1(VALU_DEP_1)
	v_rcp_f32_e32 v6, v5
	s_waitcnt_depctr 0xfff
	v_fma_f32 v23, -v5, v6, 1.0
	v_fmac_f32_e32 v6, v23, v6
	v_div_scale_f32 v23, vcc_lo, 1.0, v4, 1.0
	s_delay_alu instid0(VALU_DEP_1) | instskip(NEXT) | instid1(VALU_DEP_1)
	v_mul_f32_e32 v24, v23, v6
	v_fma_f32 v25, -v5, v24, v23
	s_delay_alu instid0(VALU_DEP_1) | instskip(NEXT) | instid1(VALU_DEP_1)
	v_fmac_f32_e32 v24, v25, v6
	v_fma_f32 v5, -v5, v24, v23
	s_delay_alu instid0(VALU_DEP_1) | instskip(NEXT) | instid1(VALU_DEP_1)
	v_div_fmas_f32 v5, v5, v6, v24
	v_div_fixup_f32 v6, v5, v4, 1.0
.LBB17_15:
	s_or_b32 exec_lo, exec_lo, s2
	v_lshrrev_b32_e32 v4, 16, v7
	v_mov_b32_e32 v7, 0
	v_mov_b32_e32 v23, 0
	s_mov_b32 s2, exec_lo
	s_delay_alu instid0(VALU_DEP_3)
	v_cmpx_o_f16_e32 v4, v4
	s_cbranch_execz .LBB17_17
; %bb.16:
	v_cvt_f32_f16_e64 v5, -v4
	s_mov_b32 s3, 0x3fb8aa3b
	s_delay_alu instid0(VALU_DEP_1) | instskip(SKIP_1) | instid1(VALU_DEP_1)
	v_cmp_ngt_f32_e32 vcc_lo, 0xc2ce8ed0, v5
	v_mul_f32_e32 v23, 0x3fb8aa3b, v5
	v_rndne_f32_e32 v24, v23
	v_fma_mix_f32 v25, -v4, s3, -v23 op_sel_hi:[1,0,0]
	s_mov_b32 s3, 0x32a5705f
	s_delay_alu instid0(VALU_DEP_2) | instskip(NEXT) | instid1(VALU_DEP_2)
	v_sub_f32_e32 v23, v23, v24
	v_fma_mix_f32 v4, -v4, s3, v25 op_sel_hi:[1,0,0]
	s_delay_alu instid0(VALU_DEP_1) | instskip(SKIP_1) | instid1(VALU_DEP_2)
	v_add_f32_e32 v4, v23, v4
	v_cvt_i32_f32_e32 v23, v24
	v_exp_f32_e32 v4, v4
	s_waitcnt_depctr 0xfff
	v_ldexp_f32 v4, v4, v23
	s_delay_alu instid0(VALU_DEP_1) | instskip(SKIP_1) | instid1(VALU_DEP_2)
	v_cndmask_b32_e32 v4, 0, v4, vcc_lo
	v_cmp_nlt_f32_e32 vcc_lo, 0x42b17218, v5
	v_cndmask_b32_e32 v4, 0x7f800000, v4, vcc_lo
	s_delay_alu instid0(VALU_DEP_1) | instskip(NEXT) | instid1(VALU_DEP_1)
	v_add_f32_e32 v4, 1.0, v4
	v_div_scale_f32 v5, null, v4, v4, 1.0
	s_delay_alu instid0(VALU_DEP_1) | instskip(SKIP_2) | instid1(VALU_DEP_1)
	v_rcp_f32_e32 v23, v5
	s_waitcnt_depctr 0xfff
	v_fma_f32 v24, -v5, v23, 1.0
	v_fmac_f32_e32 v23, v24, v23
	v_div_scale_f32 v24, vcc_lo, 1.0, v4, 1.0
	s_delay_alu instid0(VALU_DEP_1) | instskip(NEXT) | instid1(VALU_DEP_1)
	v_mul_f32_e32 v25, v24, v23
	v_fma_f32 v26, -v5, v25, v24
	s_delay_alu instid0(VALU_DEP_1) | instskip(NEXT) | instid1(VALU_DEP_1)
	v_fmac_f32_e32 v25, v26, v23
	v_fma_f32 v5, -v5, v25, v24
	s_delay_alu instid0(VALU_DEP_1) | instskip(NEXT) | instid1(VALU_DEP_1)
	v_div_fmas_f32 v5, v5, v23, v25
	v_div_fixup_f32 v23, v5, v4, 1.0
.LBB17_17:
	s_or_b32 exec_lo, exec_lo, s2
	s_delay_alu instid0(SALU_CYCLE_1)
	s_mov_b32 s2, exec_lo
	s_waitcnt vmcnt(2)
	v_cmpx_o_f16_e32 v12, v12
	s_cbranch_execz .LBB17_19
; %bb.18:
	v_cvt_f32_f16_e64 v4, -v12
	s_mov_b32 s3, 0x3fb8aa3b
	s_delay_alu instid0(VALU_DEP_1) | instskip(SKIP_1) | instid1(VALU_DEP_2)
	v_mul_f32_e32 v5, 0x3fb8aa3b, v4
	v_cmp_ngt_f32_e32 vcc_lo, 0xc2ce8ed0, v4
	v_rndne_f32_e32 v7, v5
	v_fma_mix_f32 v24, -v12, s3, -v5 op_sel_hi:[1,0,0]
	s_mov_b32 s3, 0x32a5705f
	s_delay_alu instid0(VALU_DEP_2) | instskip(NEXT) | instid1(VALU_DEP_2)
	v_sub_f32_e32 v5, v5, v7
	v_fma_mix_f32 v24, -v12, s3, v24 op_sel_hi:[1,0,0]
	v_cvt_i32_f32_e32 v7, v7
	s_delay_alu instid0(VALU_DEP_2) | instskip(NEXT) | instid1(VALU_DEP_1)
	v_add_f32_e32 v5, v5, v24
	v_exp_f32_e32 v5, v5
	s_waitcnt_depctr 0xfff
	v_ldexp_f32 v5, v5, v7
	s_delay_alu instid0(VALU_DEP_1) | instskip(SKIP_1) | instid1(VALU_DEP_2)
	v_cndmask_b32_e32 v5, 0, v5, vcc_lo
	v_cmp_nlt_f32_e32 vcc_lo, 0x42b17218, v4
	v_cndmask_b32_e32 v4, 0x7f800000, v5, vcc_lo
	s_delay_alu instid0(VALU_DEP_1) | instskip(NEXT) | instid1(VALU_DEP_1)
	v_add_f32_e32 v4, 1.0, v4
	v_div_scale_f32 v5, null, v4, v4, 1.0
	s_delay_alu instid0(VALU_DEP_1) | instskip(SKIP_2) | instid1(VALU_DEP_1)
	v_rcp_f32_e32 v7, v5
	s_waitcnt_depctr 0xfff
	v_fma_f32 v24, -v5, v7, 1.0
	v_fmac_f32_e32 v7, v24, v7
	v_div_scale_f32 v24, vcc_lo, 1.0, v4, 1.0
	s_delay_alu instid0(VALU_DEP_1) | instskip(NEXT) | instid1(VALU_DEP_1)
	v_mul_f32_e32 v25, v24, v7
	v_fma_f32 v26, -v5, v25, v24
	s_delay_alu instid0(VALU_DEP_1) | instskip(NEXT) | instid1(VALU_DEP_1)
	v_fmac_f32_e32 v25, v26, v7
	v_fma_f32 v5, -v5, v25, v24
	s_delay_alu instid0(VALU_DEP_1) | instskip(NEXT) | instid1(VALU_DEP_1)
	v_div_fmas_f32 v5, v5, v7, v25
	v_div_fixup_f32 v7, v5, v4, 1.0
.LBB17_19:
	s_or_b32 exec_lo, exec_lo, s2
	v_lshrrev_b32_e32 v4, 16, v12
	v_mov_b32_e32 v12, 0
	v_mov_b32_e32 v24, 0
	s_mov_b32 s2, exec_lo
	s_delay_alu instid0(VALU_DEP_3)
	v_cmpx_o_f16_e32 v4, v4
	s_cbranch_execz .LBB17_21
; %bb.20:
	v_cvt_f32_f16_e64 v5, -v4
	s_mov_b32 s3, 0x3fb8aa3b
	s_delay_alu instid0(VALU_DEP_1) | instskip(SKIP_1) | instid1(VALU_DEP_2)
	v_mul_f32_e32 v24, 0x3fb8aa3b, v5
	v_cmp_ngt_f32_e32 vcc_lo, 0xc2ce8ed0, v5
	v_rndne_f32_e32 v25, v24
	v_fma_mix_f32 v26, -v4, s3, -v24 op_sel_hi:[1,0,0]
	s_mov_b32 s3, 0x32a5705f
	s_delay_alu instid0(VALU_DEP_2) | instskip(NEXT) | instid1(VALU_DEP_2)
	v_sub_f32_e32 v24, v24, v25
	v_fma_mix_f32 v4, -v4, s3, v26 op_sel_hi:[1,0,0]
	s_delay_alu instid0(VALU_DEP_1) | instskip(SKIP_1) | instid1(VALU_DEP_2)
	v_add_f32_e32 v4, v24, v4
	v_cvt_i32_f32_e32 v24, v25
	v_exp_f32_e32 v4, v4
	s_waitcnt_depctr 0xfff
	v_ldexp_f32 v4, v4, v24
	s_delay_alu instid0(VALU_DEP_1) | instskip(SKIP_1) | instid1(VALU_DEP_2)
	v_cndmask_b32_e32 v4, 0, v4, vcc_lo
	v_cmp_nlt_f32_e32 vcc_lo, 0x42b17218, v5
	v_cndmask_b32_e32 v4, 0x7f800000, v4, vcc_lo
	s_delay_alu instid0(VALU_DEP_1) | instskip(NEXT) | instid1(VALU_DEP_1)
	v_add_f32_e32 v4, 1.0, v4
	v_div_scale_f32 v5, null, v4, v4, 1.0
	s_delay_alu instid0(VALU_DEP_1) | instskip(SKIP_2) | instid1(VALU_DEP_1)
	v_rcp_f32_e32 v24, v5
	s_waitcnt_depctr 0xfff
	v_fma_f32 v25, -v5, v24, 1.0
	v_fmac_f32_e32 v24, v25, v24
	v_div_scale_f32 v25, vcc_lo, 1.0, v4, 1.0
	s_delay_alu instid0(VALU_DEP_1) | instskip(NEXT) | instid1(VALU_DEP_1)
	v_mul_f32_e32 v26, v25, v24
	v_fma_f32 v27, -v5, v26, v25
	s_delay_alu instid0(VALU_DEP_1) | instskip(NEXT) | instid1(VALU_DEP_1)
	v_fmac_f32_e32 v26, v27, v24
	v_fma_f32 v5, -v5, v26, v25
	s_delay_alu instid0(VALU_DEP_1) | instskip(NEXT) | instid1(VALU_DEP_1)
	v_div_fmas_f32 v5, v5, v24, v26
	v_div_fixup_f32 v24, v5, v4, 1.0
.LBB17_21:
	s_or_b32 exec_lo, exec_lo, s2
	s_delay_alu instid0(SALU_CYCLE_1)
	s_mov_b32 s2, exec_lo
	v_cmpx_o_f16_e32 v13, v13
	s_cbranch_execz .LBB17_23
; %bb.22:
	v_cvt_f32_f16_e64 v4, -v13
	s_mov_b32 s3, 0x3fb8aa3b
	s_delay_alu instid0(VALU_DEP_1) | instskip(SKIP_1) | instid1(VALU_DEP_2)
	v_mul_f32_e32 v5, 0x3fb8aa3b, v4
	v_cmp_ngt_f32_e32 vcc_lo, 0xc2ce8ed0, v4
	v_rndne_f32_e32 v12, v5
	v_fma_mix_f32 v25, -v13, s3, -v5 op_sel_hi:[1,0,0]
	s_mov_b32 s3, 0x32a5705f
	s_delay_alu instid0(VALU_DEP_2) | instskip(NEXT) | instid1(VALU_DEP_2)
	v_sub_f32_e32 v5, v5, v12
	v_fma_mix_f32 v25, -v13, s3, v25 op_sel_hi:[1,0,0]
	v_cvt_i32_f32_e32 v12, v12
	s_delay_alu instid0(VALU_DEP_2) | instskip(NEXT) | instid1(VALU_DEP_1)
	v_add_f32_e32 v5, v5, v25
	v_exp_f32_e32 v5, v5
	s_waitcnt_depctr 0xfff
	v_ldexp_f32 v5, v5, v12
	s_delay_alu instid0(VALU_DEP_1) | instskip(SKIP_1) | instid1(VALU_DEP_2)
	v_cndmask_b32_e32 v5, 0, v5, vcc_lo
	v_cmp_nlt_f32_e32 vcc_lo, 0x42b17218, v4
	v_cndmask_b32_e32 v4, 0x7f800000, v5, vcc_lo
	s_delay_alu instid0(VALU_DEP_1) | instskip(NEXT) | instid1(VALU_DEP_1)
	v_add_f32_e32 v4, 1.0, v4
	v_div_scale_f32 v5, null, v4, v4, 1.0
	s_delay_alu instid0(VALU_DEP_1) | instskip(SKIP_2) | instid1(VALU_DEP_1)
	v_rcp_f32_e32 v12, v5
	s_waitcnt_depctr 0xfff
	v_fma_f32 v25, -v5, v12, 1.0
	v_fmac_f32_e32 v12, v25, v12
	v_div_scale_f32 v25, vcc_lo, 1.0, v4, 1.0
	s_delay_alu instid0(VALU_DEP_1) | instskip(NEXT) | instid1(VALU_DEP_1)
	v_mul_f32_e32 v26, v25, v12
	v_fma_f32 v27, -v5, v26, v25
	s_delay_alu instid0(VALU_DEP_1) | instskip(NEXT) | instid1(VALU_DEP_1)
	v_fmac_f32_e32 v26, v27, v12
	v_fma_f32 v5, -v5, v26, v25
	s_delay_alu instid0(VALU_DEP_1) | instskip(NEXT) | instid1(VALU_DEP_1)
	v_div_fmas_f32 v5, v5, v12, v26
	v_div_fixup_f32 v12, v5, v4, 1.0
.LBB17_23:
	s_or_b32 exec_lo, exec_lo, s2
	v_lshrrev_b32_e32 v4, 16, v13
	v_mov_b32_e32 v13, 0
	s_mov_b32 s2, exec_lo
	s_delay_alu instid0(VALU_DEP_2)
	v_cmpx_o_f16_e32 v4, v4
	s_cbranch_execz .LBB17_25
; %bb.24:
	v_cvt_f32_f16_e64 v5, -v4
	s_mov_b32 s3, 0x3fb8aa3b
	s_delay_alu instid0(VALU_DEP_1) | instskip(SKIP_1) | instid1(VALU_DEP_1)
	v_cmp_ngt_f32_e32 vcc_lo, 0xc2ce8ed0, v5
	v_mul_f32_e32 v13, 0x3fb8aa3b, v5
	v_rndne_f32_e32 v25, v13
	v_fma_mix_f32 v26, -v4, s3, -v13 op_sel_hi:[1,0,0]
	s_mov_b32 s3, 0x32a5705f
	s_delay_alu instid0(VALU_DEP_2) | instskip(NEXT) | instid1(VALU_DEP_2)
	v_sub_f32_e32 v13, v13, v25
	v_fma_mix_f32 v4, -v4, s3, v26 op_sel_hi:[1,0,0]
	s_delay_alu instid0(VALU_DEP_1) | instskip(SKIP_1) | instid1(VALU_DEP_2)
	v_add_f32_e32 v4, v13, v4
	v_cvt_i32_f32_e32 v13, v25
	v_exp_f32_e32 v4, v4
	s_waitcnt_depctr 0xfff
	v_ldexp_f32 v4, v4, v13
	s_delay_alu instid0(VALU_DEP_1) | instskip(SKIP_1) | instid1(VALU_DEP_2)
	v_cndmask_b32_e32 v4, 0, v4, vcc_lo
	v_cmp_nlt_f32_e32 vcc_lo, 0x42b17218, v5
	v_cndmask_b32_e32 v4, 0x7f800000, v4, vcc_lo
	s_delay_alu instid0(VALU_DEP_1) | instskip(NEXT) | instid1(VALU_DEP_1)
	v_add_f32_e32 v4, 1.0, v4
	v_div_scale_f32 v5, null, v4, v4, 1.0
	s_delay_alu instid0(VALU_DEP_1) | instskip(SKIP_2) | instid1(VALU_DEP_1)
	v_rcp_f32_e32 v13, v5
	s_waitcnt_depctr 0xfff
	v_fma_f32 v25, -v5, v13, 1.0
	v_fmac_f32_e32 v13, v25, v13
	v_div_scale_f32 v25, vcc_lo, 1.0, v4, 1.0
	s_delay_alu instid0(VALU_DEP_1) | instskip(NEXT) | instid1(VALU_DEP_1)
	v_mul_f32_e32 v26, v25, v13
	v_fma_f32 v27, -v5, v26, v25
	s_delay_alu instid0(VALU_DEP_1) | instskip(NEXT) | instid1(VALU_DEP_1)
	v_fmac_f32_e32 v26, v27, v13
	v_fma_f32 v5, -v5, v26, v25
	s_delay_alu instid0(VALU_DEP_1) | instskip(NEXT) | instid1(VALU_DEP_1)
	v_div_fmas_f32 v5, v5, v13, v26
	v_div_fixup_f32 v13, v5, v4, 1.0
.LBB17_25:
	s_or_b32 exec_lo, exec_lo, s2
	s_waitcnt vmcnt(0)
	v_lshrrev_b32_e32 v4, 16, v0
	v_cvt_f32_f16_e32 v0, v0
	s_mov_b32 s2, exec_lo
	s_delay_alu instid0(VALU_DEP_2) | instskip(NEXT) | instid1(VALU_DEP_1)
	v_cvt_f32_f16_e32 v4, v4
	v_add_f32_e32 v26, v18, v4
	s_delay_alu instid0(VALU_DEP_1) | instskip(NEXT) | instid1(VALU_DEP_1)
	v_dual_add_f32 v25, v16, v0 :: v_dual_mov_b32 v28, v26
	v_max_f32_e32 v4, 0xff7fffff, v25
	s_delay_alu instid0(VALU_DEP_1)
	v_mov_b32_e32 v0, v4
	v_cmpx_ngt_f32_e32 v26, v4
	s_cbranch_execz .LBB17_29
; %bb.26:
	v_mov_b32_e32 v0, 0xff7fffff
	s_mov_b32 s3, exec_lo
	v_cmpx_lt_f32_e32 0xff7fffff, v26
; %bb.27:
	v_mov_b32_e32 v0, v26
; %bb.28:
	s_or_b32 exec_lo, exec_lo, s3
	v_mov_b32_e32 v28, v4
.LBB17_29:
	s_or_b32 exec_lo, exec_lo, s2
	v_cvt_f32_f16_e32 v4, v1
	s_mov_b32 s2, exec_lo
	s_delay_alu instid0(VALU_DEP_1) | instskip(NEXT) | instid1(VALU_DEP_1)
	v_dual_add_f32 v27, v17, v4 :: v_dual_mov_b32 v4, v28
	v_mov_b32_e32 v5, v27
	v_cmpx_ngt_f32_e32 v27, v28
	s_cbranch_execz .LBB17_33
; %bb.30:
	s_mov_b32 s3, exec_lo
	v_cmpx_gt_f32_e32 v27, v0
; %bb.31:
	v_mov_b32_e32 v0, v27
; %bb.32:
	s_or_b32 exec_lo, exec_lo, s3
	s_delay_alu instid0(VALU_DEP_1)
	v_mov_b32_e32 v4, v0
	v_mov_b32_e32 v5, v28
.LBB17_33:
	s_or_b32 exec_lo, exec_lo, s2
	v_lshrrev_b32_e32 v0, 16, v1
	s_mov_b32 s2, exec_lo
	s_delay_alu instid0(VALU_DEP_1) | instskip(NEXT) | instid1(VALU_DEP_1)
	v_cvt_f32_f16_e32 v0, v0
	v_add_f32_e32 v28, v20, v0
	s_delay_alu instid0(VALU_DEP_1)
	v_dual_mov_b32 v30, v5 :: v_dual_mov_b32 v31, v28
	v_cmpx_ngt_f32_e32 v28, v5
	s_cbranch_execz .LBB17_37
; %bb.34:
	s_mov_b32 s3, exec_lo
	v_cmpx_gt_f32_e32 v28, v4
; %bb.35:
	v_mov_b32_e32 v4, v28
; %bb.36:
	s_or_b32 exec_lo, exec_lo, s3
	s_delay_alu instid0(VALU_DEP_1)
	v_dual_mov_b32 v30, v4 :: v_dual_mov_b32 v31, v5
.LBB17_37:
	s_or_b32 exec_lo, exec_lo, s2
	v_cvt_f32_f16_e32 v0, v2
	s_mov_b32 s2, exec_lo
	s_delay_alu instid0(VALU_DEP_1) | instskip(NEXT) | instid1(VALU_DEP_1)
	v_add_f32_e32 v29, v19, v0
	v_dual_mov_b32 v0, v31 :: v_dual_mov_b32 v1, v29
	v_cmpx_ngt_f32_e32 v29, v31
	s_cbranch_execz .LBB17_41
; %bb.38:
	s_mov_b32 s3, exec_lo
	v_cmpx_gt_f32_e32 v29, v30
; %bb.39:
	v_mov_b32_e32 v30, v29
; %bb.40:
	s_or_b32 exec_lo, exec_lo, s3
	s_delay_alu instid0(VALU_DEP_1)
	v_dual_mov_b32 v0, v30 :: v_dual_mov_b32 v1, v31
.LBB17_41:
	s_or_b32 exec_lo, exec_lo, s2
	v_lshrrev_b32_e32 v2, 16, v2
	s_mov_b32 s2, exec_lo
	s_delay_alu instid0(VALU_DEP_1) | instskip(NEXT) | instid1(VALU_DEP_1)
	v_cvt_f32_f16_e32 v2, v2
	v_add_f32_e32 v30, v21, v2
	v_mov_b32_e32 v2, v1
	s_delay_alu instid0(VALU_DEP_2)
	v_mov_b32_e32 v4, v30
	v_cmpx_ngt_f32_e32 v30, v1
	s_cbranch_execz .LBB17_45
; %bb.42:
	s_mov_b32 s3, exec_lo
	v_cmpx_gt_f32_e32 v30, v0
; %bb.43:
	v_mov_b32_e32 v0, v30
; %bb.44:
	s_or_b32 exec_lo, exec_lo, s3
	s_delay_alu instid0(VALU_DEP_1)
	v_mov_b32_e32 v2, v0
	v_mov_b32_e32 v4, v1
.LBB17_45:
	s_or_b32 exec_lo, exec_lo, s2
	v_cvt_f32_f16_e32 v0, v3
	s_mov_b32 s2, exec_lo
	s_delay_alu instid0(VALU_DEP_1) | instskip(NEXT) | instid1(VALU_DEP_1)
	v_dual_add_f32 v31, v6, v0 :: v_dual_mov_b32 v0, v4
	v_mov_b32_e32 v1, v31
	v_cmpx_ngt_f32_e32 v31, v4
	s_cbranch_execz .LBB17_49
; %bb.46:
	s_mov_b32 s3, exec_lo
	v_cmpx_gt_f32_e32 v31, v2
; %bb.47:
	v_mov_b32_e32 v2, v31
; %bb.48:
	s_or_b32 exec_lo, exec_lo, s3
	s_delay_alu instid0(VALU_DEP_1)
	v_dual_mov_b32 v0, v2 :: v_dual_mov_b32 v1, v4
.LBB17_49:
	s_or_b32 exec_lo, exec_lo, s2
	v_lshrrev_b32_e32 v2, 16, v3
	s_mov_b32 s2, exec_lo
	s_delay_alu instid0(VALU_DEP_1) | instskip(NEXT) | instid1(VALU_DEP_1)
	v_cvt_f32_f16_e32 v2, v2
	v_add_f32_e32 v32, v23, v2
	s_delay_alu instid0(VALU_DEP_1)
	v_dual_mov_b32 v2, v1 :: v_dual_mov_b32 v3, v32
	v_cmpx_ngt_f32_e32 v32, v1
	s_cbranch_execz .LBB17_53
; %bb.50:
	s_mov_b32 s3, exec_lo
	v_cmpx_gt_f32_e32 v32, v0
; %bb.51:
	v_mov_b32_e32 v0, v32
; %bb.52:
	s_or_b32 exec_lo, exec_lo, s3
	s_delay_alu instid0(VALU_DEP_1)
	v_dual_mov_b32 v2, v0 :: v_dual_mov_b32 v3, v1
.LBB17_53:
	s_or_b32 exec_lo, exec_lo, s2
	v_cvt_f32_f16_e32 v0, v10
	s_mov_b32 s2, exec_lo
	s_delay_alu instid0(VALU_DEP_1) | instskip(NEXT) | instid1(VALU_DEP_1)
	v_add_f32_e32 v33, v7, v0
	v_dual_mov_b32 v0, v3 :: v_dual_mov_b32 v1, v33
	v_cmpx_ngt_f32_e32 v33, v3
	s_cbranch_execz .LBB17_57
; %bb.54:
	s_mov_b32 s3, exec_lo
	v_cmpx_gt_f32_e32 v33, v2
; %bb.55:
	v_mov_b32_e32 v2, v33
; %bb.56:
	s_or_b32 exec_lo, exec_lo, s3
	s_delay_alu instid0(VALU_DEP_1)
	v_dual_mov_b32 v0, v2 :: v_dual_mov_b32 v1, v3
.LBB17_57:
	s_or_b32 exec_lo, exec_lo, s2
	v_lshrrev_b32_e32 v2, 16, v10
	s_mov_b32 s2, exec_lo
	s_delay_alu instid0(VALU_DEP_1) | instskip(NEXT) | instid1(VALU_DEP_1)
	v_cvt_f32_f16_e32 v2, v2
	v_add_f32_e32 v34, v24, v2
	s_delay_alu instid0(VALU_DEP_1)
	v_dual_mov_b32 v2, v1 :: v_dual_mov_b32 v3, v34
	v_cmpx_ngt_f32_e32 v34, v1
	s_cbranch_execz .LBB17_61
; %bb.58:
	s_mov_b32 s3, exec_lo
	v_cmpx_gt_f32_e32 v34, v0
; %bb.59:
	v_mov_b32_e32 v0, v34
; %bb.60:
	s_or_b32 exec_lo, exec_lo, s3
	s_delay_alu instid0(VALU_DEP_1)
	v_dual_mov_b32 v2, v0 :: v_dual_mov_b32 v3, v1
.LBB17_61:
	s_or_b32 exec_lo, exec_lo, s2
	v_cvt_f32_f16_e32 v0, v11
	s_mov_b32 s2, exec_lo
	s_delay_alu instid0(VALU_DEP_1) | instskip(NEXT) | instid1(VALU_DEP_1)
	v_dual_add_f32 v35, v12, v0 :: v_dual_mov_b32 v0, v3
	v_mov_b32_e32 v1, v35
	v_cmpx_ngt_f32_e32 v35, v3
	s_cbranch_execz .LBB17_65
; %bb.62:
	s_mov_b32 s3, exec_lo
	v_cmpx_gt_f32_e32 v35, v2
; %bb.63:
	v_mov_b32_e32 v2, v35
; %bb.64:
	s_or_b32 exec_lo, exec_lo, s3
	s_delay_alu instid0(VALU_DEP_1)
	v_dual_mov_b32 v0, v2 :: v_dual_mov_b32 v1, v3
.LBB17_65:
	s_or_b32 exec_lo, exec_lo, s2
	v_lshrrev_b32_e32 v2, 16, v11
	s_mov_b32 s2, exec_lo
	s_delay_alu instid0(VALU_DEP_1) | instskip(NEXT) | instid1(VALU_DEP_1)
	v_cvt_f32_f16_e32 v2, v2
	v_add_f32_e32 v11, v13, v2
	s_delay_alu instid0(VALU_DEP_1)
	v_dual_mov_b32 v2, v1 :: v_dual_mov_b32 v3, v11
	v_cmpx_ngt_f32_e32 v11, v1
	s_cbranch_execz .LBB17_69
; %bb.66:
	s_mov_b32 s3, exec_lo
	v_cmpx_gt_f32_e32 v11, v0
; %bb.67:
	v_mov_b32_e32 v0, v11
; %bb.68:
	s_or_b32 exec_lo, exec_lo, s3
	s_delay_alu instid0(VALU_DEP_1)
	v_dual_mov_b32 v2, v0 :: v_dual_mov_b32 v3, v1
.LBB17_69:
	s_or_b32 exec_lo, exec_lo, s2
	v_cmp_lt_i64_e64 s2, s[26:27], 8
	s_delay_alu instid0(VALU_DEP_1)
	s_and_b32 vcc_lo, exec_lo, s2
	s_cbranch_vccz .LBB17_72
; %bb.70:
	v_add_f32_e32 v0, v2, v3
	s_sub_u32 s4, 8, s26
	s_subb_u32 s5, 0, s27
	s_mov_b64 s[6:7], 0
.LBB17_71:                              ; =>This Inner Loop Header: Depth=1
	s_delay_alu instid0(VALU_DEP_1) | instskip(SKIP_1) | instid1(VALU_DEP_2)
	v_mov_b32_dpp v1, v0 quad_perm:[1,0,3,2] row_mask:0xf bank_mask:0xf
	v_mov_b32_dpp v2, v15 quad_perm:[1,0,3,2] row_mask:0xf bank_mask:0xf
	v_cmp_eq_f32_e32 vcc_lo, v0, v1
	s_delay_alu instid0(VALU_DEP_2) | instskip(SKIP_1) | instid1(VALU_DEP_2)
	v_cmp_lt_i32_e64 s2, v15, v2
	v_cmp_lt_f32_e64 s3, v0, v1
	s_and_b32 s2, s2, vcc_lo
	s_delay_alu instid0(VALU_DEP_1) | instid1(SALU_CYCLE_1)
	s_or_b32 vcc_lo, s3, s2
	v_dual_cndmask_b32 v1, v1, v0 :: v_dual_cndmask_b32 v2, v2, v15
	s_delay_alu instid0(VALU_DEP_1) | instskip(NEXT) | instid1(VALU_DEP_2)
	v_mov_b32_dpp v3, v1 quad_perm:[2,3,0,1] row_mask:0xf bank_mask:0xf
	v_mov_b32_dpp v4, v2 quad_perm:[2,3,0,1] row_mask:0xf bank_mask:0xf
	s_delay_alu instid0(VALU_DEP_2) | instskip(NEXT) | instid1(VALU_DEP_2)
	v_cmp_eq_f32_e32 vcc_lo, v1, v3
	v_cmp_lt_i32_e64 s2, v2, v4
	s_delay_alu instid0(VALU_DEP_1) | instskip(SKIP_2) | instid1(VALU_DEP_2)
	s_and_b32 vcc_lo, vcc_lo, s2
	v_cmp_lt_f32_e64 s2, v1, v3
	v_cndmask_b32_e32 v5, v3, v1, vcc_lo
	s_or_b32 vcc_lo, s2, vcc_lo
	s_add_u32 s6, s6, 1
	v_cndmask_b32_e32 v2, v4, v2, vcc_lo
	s_delay_alu instid0(VALU_DEP_2) | instskip(SKIP_1) | instid1(SALU_CYCLE_1)
	v_cndmask_b32_e64 v1, v5, v1, s2
	s_addc_u32 s7, s7, 0
	v_cmp_le_i64_e64 s2, s[4:5], s[6:7]
	s_delay_alu instid0(VALU_DEP_3) | instskip(NEXT) | instid1(VALU_DEP_3)
	v_mov_b32_dpp v3, v2 row_half_mirror row_mask:0xf bank_mask:0xf
	v_mov_b32_dpp v4, v1 row_half_mirror row_mask:0xf bank_mask:0xf
	s_delay_alu instid0(VALU_DEP_2) | instskip(NEXT) | instid1(VALU_DEP_2)
	v_min_i32_e32 v5, v2, v3
	v_cmp_eq_f32_e32 vcc_lo, v1, v4
	s_delay_alu instid0(VALU_DEP_2) | instskip(SKIP_1) | instid1(VALU_DEP_2)
	v_cndmask_b32_e32 v3, v3, v5, vcc_lo
	v_cmp_lt_f32_e32 vcc_lo, v1, v4
	v_cndmask_b32_e32 v1, v3, v2, vcc_lo
	s_delay_alu instid0(VALU_DEP_1) | instskip(NEXT) | instid1(VALU_DEP_1)
	v_mul_hi_i32 v1, 0x2aaaaaab, v1
	v_lshrrev_b32_e32 v2, 31, v1
	v_ashrrev_i32_e32 v1, 1, v1
	s_delay_alu instid0(VALU_DEP_1) | instskip(NEXT) | instid1(VALU_DEP_1)
	v_add_nc_u32_e32 v1, v1, v2
	v_cmp_eq_u32_e32 vcc_lo, v14, v1
	v_cndmask_b32_e64 v25, v25, 0x7f7fffff, vcc_lo
	v_cndmask_b32_e64 v0, v0, 0x7f7fffff, vcc_lo
	s_and_b32 vcc_lo, exec_lo, s2
	s_cbranch_vccz .LBB17_71
.LBB17_72:
	s_sub_u32 s14, s28, s30
	s_subb_u32 s15, s29, s31
	s_mov_b64 s[2:3], src_shared_base
	s_cmp_lg_u32 0, -1
	v_lshlrev_b32_e32 v4, 2, v22
	s_cselect_b32 s2, s3, 0
	s_cselect_b32 s3, 0, 0
	s_load_b32 s18, s[0:1], 0x48
	s_add_u32 s4, s3, 0xff
	s_addc_u32 s3, s2, 0
	s_and_b32 s2, s4, 0xffffff00
	s_delay_alu instid0(SALU_CYCLE_1) | instskip(SKIP_1) | instid1(VALU_DEP_1)
	v_mad_u64_u32 v[0:1], null, v4, s28, s[2:3]
	v_cmp_lt_i64_e64 s2, s[14:15], 1
	s_and_b32 vcc_lo, exec_lo, s2
	s_delay_alu instid0(VALU_DEP_2) | instskip(SKIP_1) | instid1(VALU_DEP_2)
	v_mad_u64_u32 v[2:3], null, v4, s29, v[1:2]
	v_cmp_eq_u32_e64 s2, 0, v14
	v_mov_b32_e32 v1, v2
	s_cbranch_vccnz .LBB17_83
; %bb.73:
	s_waitcnt lgkmcnt(0)
	v_mad_u64_u32 v[2:3], null, s18, v8, 0
	s_ashr_i32 s3, s18, 31
	v_add_nc_u32_e32 v36, 5, v15
	v_dual_mov_b32 v10, 0 :: v_dual_add_nc_u32 v37, 6, v15
	v_add_nc_u32_e32 v38, 7, v15
	v_add_nc_u32_e32 v39, 8, v15
	v_mad_u64_u32 v[4:5], null, s3, v8, v[3:4]
	v_add_nc_u32_e32 v22, 4, v15
	v_add_nc_u32_e32 v40, 9, v15
	;; [unrolled: 1-line block ×4, first 2 shown]
	s_mov_b64 s[16:17], 0
	v_mov_b32_e32 v3, v4
	v_dual_mov_b32 v5, v1 :: v_dual_mov_b32 v4, v0
	s_delay_alu instid0(VALU_DEP_2) | instskip(NEXT) | instid1(VALU_DEP_1)
	v_lshlrev_b64 v[2:3], 2, v[2:3]
	v_add_co_u32 v2, vcc_lo, s22, v2
	s_delay_alu instid0(VALU_DEP_2)
	v_add_co_ci_u32_e32 v3, vcc_lo, s23, v3, vcc_lo
	s_branch .LBB17_75
.LBB17_74:                              ;   in Loop: Header=BB17_75 Depth=1
	s_or_b32 exec_lo, exec_lo, s3
	s_add_u32 s16, s16, 1
	s_addc_u32 s17, s17, 0
	v_add_co_u32 v2, vcc_lo, v2, 4
	v_cmp_le_i64_e64 s3, s[14:15], s[16:17]
	v_add_co_ci_u32_e32 v3, vcc_lo, 0, v3, vcc_lo
	v_add_co_u32 v4, vcc_lo, v4, 4
	v_add_co_ci_u32_e32 v5, vcc_lo, 0, v5, vcc_lo
	s_delay_alu instid0(VALU_DEP_4)
	s_and_b32 vcc_lo, exec_lo, s3
	s_cbranch_vccnz .LBB17_84
.LBB17_75:                              ; =>This Inner Loop Header: Depth=1
	v_dual_mov_b32 v43, 0xff7fffff :: v_dual_mov_b32 v44, v15
	s_mov_b32 s3, exec_lo
	v_cmpx_neq_f32_e32 0x7f7fffff, v25
	s_cbranch_execz .LBB17_77
; %bb.76:                               ;   in Loop: Header=BB17_75 Depth=1
	v_cmp_gt_f32_e32 vcc_lo, v26, v25
	v_cndmask_b32_e32 v43, v25, v26, vcc_lo
	v_cndmask_b32_e64 v44, 0, 1, vcc_lo
	s_delay_alu instid0(VALU_DEP_2) | instskip(SKIP_1) | instid1(VALU_DEP_3)
	v_cmp_gt_f32_e32 vcc_lo, v27, v43
	v_cndmask_b32_e32 v43, v43, v27, vcc_lo
	v_cndmask_b32_e64 v44, v44, 2, vcc_lo
	s_delay_alu instid0(VALU_DEP_2) | instskip(SKIP_1) | instid1(VALU_DEP_3)
	v_cmp_gt_f32_e32 vcc_lo, v28, v43
	v_cndmask_b32_e32 v43, v43, v28, vcc_lo
	v_cndmask_b32_e64 v44, v44, 3, vcc_lo
	s_delay_alu instid0(VALU_DEP_2) | instskip(NEXT) | instid1(VALU_DEP_2)
	v_cmp_gt_f32_e32 vcc_lo, v29, v43
	v_or_b32_e32 v44, v44, v15
	s_delay_alu instid0(VALU_DEP_1) | instskip(NEXT) | instid1(VALU_DEP_1)
	v_dual_cndmask_b32 v43, v43, v29 :: v_dual_cndmask_b32 v44, v44, v22
	v_cmp_gt_f32_e32 vcc_lo, v30, v43
	s_delay_alu instid0(VALU_DEP_2) | instskip(NEXT) | instid1(VALU_DEP_1)
	v_dual_cndmask_b32 v43, v43, v30 :: v_dual_cndmask_b32 v44, v44, v36
	v_cmp_gt_f32_e32 vcc_lo, v31, v43
	s_delay_alu instid0(VALU_DEP_2) | instskip(NEXT) | instid1(VALU_DEP_1)
	;; [unrolled: 3-line block ×6, first 2 shown]
	v_dual_cndmask_b32 v43, v43, v35 :: v_dual_cndmask_b32 v44, v44, v41
	v_cmp_gt_f32_e32 vcc_lo, v11, v43
	s_delay_alu instid0(VALU_DEP_2)
	v_dual_cndmask_b32 v44, v44, v42 :: v_dual_cndmask_b32 v43, v43, v11
.LBB17_77:                              ;   in Loop: Header=BB17_75 Depth=1
	s_or_b32 exec_lo, exec_lo, s3
	s_delay_alu instid0(VALU_DEP_1) | instskip(NEXT) | instid1(VALU_DEP_2)
	v_mov_b32_dpp v45, v43 quad_perm:[1,0,3,2] row_mask:0xf bank_mask:0xf
	v_mov_b32_dpp v46, v44 quad_perm:[1,0,3,2] row_mask:0xf bank_mask:0xf
	s_mov_b32 s19, exec_lo
	s_delay_alu instid0(VALU_DEP_2) | instskip(NEXT) | instid1(VALU_DEP_2)
	v_cmp_eq_f32_e32 vcc_lo, v43, v45
	v_cmp_lt_i32_e64 s3, v44, v46
	v_cmp_gt_f32_e64 s4, v43, v45
	s_delay_alu instid0(VALU_DEP_2)
	s_and_b32 s3, vcc_lo, s3
	s_delay_alu instid0(VALU_DEP_1) | instid1(SALU_CYCLE_1)
	s_or_b32 vcc_lo, s4, s3
	v_dual_cndmask_b32 v43, v45, v43 :: v_dual_cndmask_b32 v44, v46, v44
	s_delay_alu instid0(VALU_DEP_1) | instskip(NEXT) | instid1(VALU_DEP_2)
	v_mov_b32_dpp v45, v43 quad_perm:[2,3,0,1] row_mask:0xf bank_mask:0xf
	v_mov_b32_dpp v46, v44 quad_perm:[2,3,0,1] row_mask:0xf bank_mask:0xf
	s_delay_alu instid0(VALU_DEP_2) | instskip(NEXT) | instid1(VALU_DEP_2)
	v_cmp_eq_f32_e32 vcc_lo, v43, v45
	v_cmp_lt_i32_e64 s3, v44, v46
	s_delay_alu instid0(VALU_DEP_1) | instskip(SKIP_2) | instid1(VALU_DEP_2)
	s_and_b32 vcc_lo, vcc_lo, s3
	v_cmp_gt_f32_e64 s3, v43, v45
	v_cndmask_b32_e32 v47, v45, v43, vcc_lo
	s_or_b32 vcc_lo, s3, vcc_lo
	v_cndmask_b32_e32 v44, v46, v44, vcc_lo
	s_delay_alu instid0(VALU_DEP_2) | instskip(NEXT) | instid1(VALU_DEP_2)
	v_cndmask_b32_e64 v43, v47, v43, s3
	v_mov_b32_dpp v45, v44 row_half_mirror row_mask:0xf bank_mask:0xf
	s_delay_alu instid0(VALU_DEP_2) | instskip(NEXT) | instid1(VALU_DEP_2)
	v_mov_b32_dpp v46, v43 row_half_mirror row_mask:0xf bank_mask:0xf
	v_min_i32_e32 v47, v44, v45
	s_delay_alu instid0(VALU_DEP_2) | instskip(NEXT) | instid1(VALU_DEP_2)
	v_cmp_eq_f32_e32 vcc_lo, v43, v46
	v_cndmask_b32_e32 v45, v45, v47, vcc_lo
	v_cmp_gt_f32_e32 vcc_lo, v43, v46
	s_delay_alu instid0(VALU_DEP_2) | instskip(NEXT) | instid1(VALU_DEP_1)
	v_cndmask_b32_e32 v43, v45, v44, vcc_lo
	v_mul_hi_i32 v44, 0x2aaaaaab, v43
	s_delay_alu instid0(VALU_DEP_1) | instskip(SKIP_1) | instid1(VALU_DEP_1)
	v_lshrrev_b32_e32 v45, 31, v44
	v_ashrrev_i32_e32 v44, 1, v44
	v_add_nc_u32_e32 v44, v44, v45
	s_delay_alu instid0(VALU_DEP_1)
	v_cmpx_eq_u32_e64 v14, v44
	s_cbranch_execz .LBB17_81
; %bb.78:                               ;   in Loop: Header=BB17_75 Depth=1
	v_sub_nc_u32_e32 v44, v43, v15
	s_mov_b32 s24, exec_lo
	s_delay_alu instid0(VALU_DEP_1)
	v_cmp_eq_u32_e32 vcc_lo, 1, v44
	v_cmp_eq_u32_e64 s3, 2, v44
	v_cmp_eq_u32_e64 s4, 3, v44
	;; [unrolled: 1-line block ×10, first 2 shown]
	v_cmpx_gt_u32_e32 12, v44
	s_cbranch_execz .LBB17_80
; %bb.79:                               ;   in Loop: Header=BB17_75 Depth=1
	v_cndmask_b32_e32 v45, v16, v18, vcc_lo
	s_delay_alu instid0(VALU_DEP_1) | instskip(NEXT) | instid1(VALU_DEP_1)
	v_cndmask_b32_e64 v45, v45, v17, s3
	v_cndmask_b32_e64 v45, v45, v20, s4
	s_delay_alu instid0(VALU_DEP_1) | instskip(NEXT) | instid1(VALU_DEP_1)
	v_cndmask_b32_e64 v45, v45, v19, s5
	v_cndmask_b32_e64 v45, v45, v21, s6
	;; [unrolled: 3-line block ×5, first 2 shown]
	flat_store_b32 v[4:5], v45
.LBB17_80:                              ;   in Loop: Header=BB17_75 Depth=1
	s_or_b32 exec_lo, exec_lo, s24
	v_cmp_ne_u32_e64 s13, 0, v44
	v_cndmask_b32_e64 v26, v26, 0xff7fffff, vcc_lo
	v_cndmask_b32_e64 v27, v27, 0xff7fffff, s3
	v_cndmask_b32_e64 v28, v28, 0xff7fffff, s4
	;; [unrolled: 1-line block ×11, first 2 shown]
	global_store_b32 v[2:3], v43, off
.LBB17_81:                              ;   in Loop: Header=BB17_75 Depth=1
	s_or_b32 exec_lo, exec_lo, s19
	s_waitcnt lgkmcnt(0)
	s_waitcnt_vscnt null, 0x0
	s_barrier
	buffer_gl0_inv
	s_and_saveexec_b32 s3, s2
	s_cbranch_execz .LBB17_74
; %bb.82:                               ;   in Loop: Header=BB17_75 Depth=1
	flat_load_b32 v43, v[4:5]
	s_waitcnt vmcnt(0) lgkmcnt(0)
	v_add_f32_e32 v10, v10, v43
	s_branch .LBB17_74
.LBB17_83:
	v_mov_b32_e32 v10, 0
.LBB17_84:
	v_cmp_gt_i64_e64 s3, s[30:31], 0
	v_cmp_eq_u32_e64 s2, 0, v14
	s_delay_alu instid0(VALU_DEP_1) | instskip(NEXT) | instid1(SALU_CYCLE_1)
	s_and_b32 s4, s2, s3
	s_and_saveexec_b32 s3, s4
	s_cbranch_execz .LBB17_90
; %bb.85:
	v_dual_mov_b32 v2, v8 :: v_dual_mov_b32 v3, v9
	s_mov_b32 s4, exec_lo
	v_cmpx_le_u64_e64 s[30:31], v[8:9]
	s_cbranch_execz .LBB17_87
; %bb.86:
	v_cvt_f32_u32_e32 v2, s30
	s_sub_i32 s5, 0, s30
	s_delay_alu instid0(VALU_DEP_1) | instskip(SKIP_2) | instid1(VALU_DEP_1)
	v_rcp_iflag_f32_e32 v2, v2
	s_waitcnt_depctr 0xfff
	v_mul_f32_e32 v2, 0x4f7ffffe, v2
	v_cvt_u32_f32_e32 v2, v2
	s_delay_alu instid0(VALU_DEP_1) | instskip(NEXT) | instid1(VALU_DEP_1)
	v_mul_lo_u32 v3, s5, v2
	v_mul_hi_u32 v3, v2, v3
	s_delay_alu instid0(VALU_DEP_1) | instskip(NEXT) | instid1(VALU_DEP_1)
	v_add_nc_u32_e32 v2, v2, v3
	v_mul_hi_u32 v2, v8, v2
	s_delay_alu instid0(VALU_DEP_1) | instskip(NEXT) | instid1(VALU_DEP_1)
	v_mul_lo_u32 v2, v2, s30
	v_sub_nc_u32_e32 v2, v8, v2
	s_delay_alu instid0(VALU_DEP_1) | instskip(SKIP_1) | instid1(VALU_DEP_2)
	v_subrev_nc_u32_e32 v3, s30, v2
	v_cmp_le_u32_e32 vcc_lo, s30, v2
	v_cndmask_b32_e32 v2, v2, v3, vcc_lo
	s_delay_alu instid0(VALU_DEP_1) | instskip(SKIP_1) | instid1(VALU_DEP_2)
	v_subrev_nc_u32_e32 v3, s30, v2
	v_cmp_le_u32_e32 vcc_lo, s30, v2
	v_dual_cndmask_b32 v2, v2, v3 :: v_dual_mov_b32 v3, 0
.LBB17_87:
	s_or_b32 exec_lo, exec_lo, s4
	v_cvt_f64_f32_e32 v[4:5], v10
	s_load_b64 s[0:1], s[0:1], 0x40
	s_waitcnt lgkmcnt(0)
	s_delay_alu instid0(VALU_DEP_1) | instskip(SKIP_1) | instid1(VALU_DEP_2)
	v_div_scale_f64 v[6:7], null, s[0:1], s[0:1], v[4:5]
	v_div_scale_f64 v[15:16], vcc_lo, v[4:5], s[0:1], v[4:5]
	v_rcp_f64_e32 v[11:12], v[6:7]
	s_waitcnt_depctr 0xfff
	v_fma_f64 v[13:14], -v[6:7], v[11:12], 1.0
	s_delay_alu instid0(VALU_DEP_1) | instskip(NEXT) | instid1(VALU_DEP_1)
	v_fma_f64 v[11:12], v[11:12], v[13:14], v[11:12]
	v_fma_f64 v[13:14], -v[6:7], v[11:12], 1.0
	s_delay_alu instid0(VALU_DEP_1) | instskip(NEXT) | instid1(VALU_DEP_1)
	v_fma_f64 v[11:12], v[11:12], v[13:14], v[11:12]
	v_mul_f64 v[13:14], v[15:16], v[11:12]
	s_delay_alu instid0(VALU_DEP_1) | instskip(NEXT) | instid1(VALU_DEP_1)
	v_fma_f64 v[6:7], -v[6:7], v[13:14], v[15:16]
	v_div_fmas_f64 v[6:7], v[6:7], v[11:12], v[13:14]
	v_add_nc_u32_e32 v13, 0x60, v2
	s_delay_alu instid0(VALU_DEP_2) | instskip(SKIP_2) | instid1(VALU_DEP_2)
	v_div_fixup_f64 v[4:5], v[6:7], s[0:1], v[4:5]
	v_mad_u64_u32 v[6:7], null, s18, v8, s[14:15]
	s_ashr_i32 s0, s18, 31
	v_cvt_f32_f64_e32 v9, v[4:5]
	s_delay_alu instid0(VALU_DEP_2) | instskip(NEXT) | instid1(VALU_DEP_1)
	v_mov_b32_e32 v4, v7
	v_mad_u64_u32 v[11:12], null, s0, v8, v[4:5]
	v_cmp_lt_u64_e64 s0, s[30:31], 2
	s_delay_alu instid0(VALU_DEP_2) | instskip(NEXT) | instid1(VALU_DEP_1)
	v_mov_b32_e32 v7, v11
	v_lshlrev_b64 v[4:5], 2, v[6:7]
	s_delay_alu instid0(VALU_DEP_1) | instskip(NEXT) | instid1(VALU_DEP_2)
	v_add_co_u32 v6, vcc_lo, s22, v4
	v_add_co_ci_u32_e32 v7, vcc_lo, s23, v5, vcc_lo
	v_add_co_u32 v11, vcc_lo, s20, v4
	v_add_co_ci_u32_e32 v12, vcc_lo, s21, v5, vcc_lo
	s_and_b32 vcc_lo, exec_lo, s0
	global_store_b32 v[6:7], v13, off
	global_store_b32 v[11:12], v9, off
	s_cbranch_vccnz .LBB17_90
; %bb.88:
	v_add_co_u32 v6, vcc_lo, v4, 4
	v_add_co_ci_u32_e32 v7, vcc_lo, 0, v5, vcc_lo
	s_mov_b64 s[0:1], 1
	s_delay_alu instid0(VALU_DEP_2) | instskip(NEXT) | instid1(VALU_DEP_2)
	v_add_co_u32 v4, vcc_lo, s20, v6
	v_add_co_ci_u32_e32 v5, vcc_lo, s21, v7, vcc_lo
	v_add_co_u32 v6, vcc_lo, s22, v6
	v_add_co_ci_u32_e32 v7, vcc_lo, s23, v7, vcc_lo
	.p2align	6
.LBB17_89:                              ; =>This Inner Loop Header: Depth=1
	s_delay_alu instid0(VALU_DEP_2)
	v_add_co_u32 v11, vcc_lo, v2, 1
	v_add_co_ci_u32_e32 v12, vcc_lo, 0, v3, vcc_lo
	v_add_nc_u32_e32 v2, 0x61, v2
	s_add_u32 s0, s0, 1
	global_store_b32 v[4:5], v9, off
	v_add_co_u32 v4, vcc_lo, v4, 4
	s_addc_u32 s1, s1, 0
	v_add_co_ci_u32_e32 v5, vcc_lo, 0, v5, vcc_lo
	v_cmp_lt_u64_e64 s4, s[0:1], s[30:31]
	global_store_b32 v[6:7], v2, off
	v_add_co_u32 v6, vcc_lo, v6, 4
	v_dual_mov_b32 v2, v11 :: v_dual_mov_b32 v3, v12
	v_add_co_ci_u32_e32 v7, vcc_lo, 0, v7, vcc_lo
	s_and_b32 vcc_lo, exec_lo, s4
	s_cbranch_vccnz .LBB17_89
.LBB17_90:
	s_or_b32 exec_lo, exec_lo, s3
	v_cmp_gt_i64_e64 s3, s[28:29], 0
	s_mov_b64 s[0:1], 0
	s_waitcnt lgkmcnt(0)
	s_waitcnt_vscnt null, 0x0
	s_barrier
	buffer_gl0_inv
	s_and_b32 s2, s2, s3
	s_delay_alu instid0(SALU_CYCLE_1)
	s_and_b32 exec_lo, exec_lo, s2
	s_cbranch_execz .LBB17_97
; %bb.91:
	v_mad_u64_u32 v[2:3], null, s18, v8, 0
	s_ashr_i32 s2, s18, 31
	s_delay_alu instid0(VALU_DEP_1) | instid1(SALU_CYCLE_1)
	v_mad_u64_u32 v[4:5], null, s2, v8, v[3:4]
	v_cmp_lt_u64_e64 s2, s[28:29], 8
	s_delay_alu instid0(VALU_DEP_2) | instskip(NEXT) | instid1(VALU_DEP_1)
	v_mov_b32_e32 v3, v4
	v_lshlrev_b64 v[2:3], 2, v[2:3]
	s_delay_alu instid0(VALU_DEP_1) | instskip(NEXT) | instid1(VALU_DEP_2)
	v_add_co_u32 v2, vcc_lo, s20, v2
	v_add_co_ci_u32_e32 v3, vcc_lo, s21, v3, vcc_lo
	s_and_b32 vcc_lo, exec_lo, s2
	s_cbranch_vccnz .LBB17_94
; %bb.92:
	s_and_b32 s1, s29, 0x7fffffff
	s_and_b32 s0, s28, -8
	s_mov_b64 s[2:3], 0
	s_mov_b64 s[4:5], s[0:1]
.LBB17_93:                              ; =>This Inner Loop Header: Depth=1
	v_add_co_u32 v4, vcc_lo, v0, s2
	v_add_co_ci_u32_e32 v5, vcc_lo, s3, v1, vcc_lo
	flat_load_b32 v8, v[4:5]
	s_waitcnt vmcnt(0) lgkmcnt(0)
	v_div_scale_f32 v6, null, v10, v10, v8
	v_div_scale_f32 v11, vcc_lo, v8, v10, v8
	s_delay_alu instid0(VALU_DEP_2) | instskip(SKIP_2) | instid1(VALU_DEP_1)
	v_rcp_f32_e32 v7, v6
	s_waitcnt_depctr 0xfff
	v_fma_f32 v9, -v6, v7, 1.0
	v_fmac_f32_e32 v7, v9, v7
	s_delay_alu instid0(VALU_DEP_1) | instskip(NEXT) | instid1(VALU_DEP_1)
	v_mul_f32_e32 v9, v11, v7
	v_fma_f32 v12, -v6, v9, v11
	s_delay_alu instid0(VALU_DEP_1) | instskip(NEXT) | instid1(VALU_DEP_1)
	v_fmac_f32_e32 v9, v12, v7
	v_fma_f32 v6, -v6, v9, v11
	s_delay_alu instid0(VALU_DEP_1) | instskip(SKIP_2) | instid1(VALU_DEP_3)
	v_div_fmas_f32 v9, v6, v7, v9
	v_add_co_u32 v6, vcc_lo, v2, s2
	v_add_co_ci_u32_e32 v7, vcc_lo, s3, v3, vcc_lo
	v_div_fixup_f32 v8, v9, v10, v8
	s_add_u32 s2, s2, 32
	s_addc_u32 s3, s3, 0
	s_add_u32 s4, s4, -8
	s_addc_u32 s5, s5, -1
	global_store_b32 v[6:7], v8, off
	flat_load_b32 v8, v[4:5] offset:4
	s_cmp_lg_u64 s[4:5], 0
	s_waitcnt vmcnt(0) lgkmcnt(0)
	v_div_scale_f32 v9, null, v10, v10, v8
	v_div_scale_f32 v13, vcc_lo, v8, v10, v8
	s_delay_alu instid0(VALU_DEP_2) | instskip(SKIP_2) | instid1(VALU_DEP_1)
	v_rcp_f32_e32 v11, v9
	s_waitcnt_depctr 0xfff
	v_fma_f32 v12, -v9, v11, 1.0
	v_fmac_f32_e32 v11, v12, v11
	s_delay_alu instid0(VALU_DEP_1) | instskip(NEXT) | instid1(VALU_DEP_1)
	v_mul_f32_e32 v12, v13, v11
	v_fma_f32 v14, -v9, v12, v13
	s_delay_alu instid0(VALU_DEP_1) | instskip(NEXT) | instid1(VALU_DEP_1)
	v_fmac_f32_e32 v12, v14, v11
	v_fma_f32 v9, -v9, v12, v13
	s_delay_alu instid0(VALU_DEP_1) | instskip(NEXT) | instid1(VALU_DEP_1)
	v_div_fmas_f32 v9, v9, v11, v12
	v_div_fixup_f32 v8, v9, v10, v8
	global_store_b32 v[6:7], v8, off offset:4
	flat_load_b32 v8, v[4:5] offset:8
	s_waitcnt vmcnt(0) lgkmcnt(0)
	v_div_scale_f32 v9, null, v10, v10, v8
	v_div_scale_f32 v13, vcc_lo, v8, v10, v8
	s_delay_alu instid0(VALU_DEP_2) | instskip(SKIP_2) | instid1(VALU_DEP_1)
	v_rcp_f32_e32 v11, v9
	s_waitcnt_depctr 0xfff
	v_fma_f32 v12, -v9, v11, 1.0
	v_fmac_f32_e32 v11, v12, v11
	s_delay_alu instid0(VALU_DEP_1) | instskip(NEXT) | instid1(VALU_DEP_1)
	v_mul_f32_e32 v12, v13, v11
	v_fma_f32 v14, -v9, v12, v13
	s_delay_alu instid0(VALU_DEP_1) | instskip(NEXT) | instid1(VALU_DEP_1)
	v_fmac_f32_e32 v12, v14, v11
	v_fma_f32 v9, -v9, v12, v13
	s_delay_alu instid0(VALU_DEP_1) | instskip(NEXT) | instid1(VALU_DEP_1)
	v_div_fmas_f32 v9, v9, v11, v12
	v_div_fixup_f32 v8, v9, v10, v8
	global_store_b32 v[6:7], v8, off offset:8
	flat_load_b32 v8, v[4:5] offset:12
	s_waitcnt vmcnt(0) lgkmcnt(0)
	v_div_scale_f32 v9, null, v10, v10, v8
	v_div_scale_f32 v13, vcc_lo, v8, v10, v8
	s_delay_alu instid0(VALU_DEP_2) | instskip(SKIP_2) | instid1(VALU_DEP_1)
	v_rcp_f32_e32 v11, v9
	s_waitcnt_depctr 0xfff
	v_fma_f32 v12, -v9, v11, 1.0
	v_fmac_f32_e32 v11, v12, v11
	s_delay_alu instid0(VALU_DEP_1) | instskip(NEXT) | instid1(VALU_DEP_1)
	v_mul_f32_e32 v12, v13, v11
	v_fma_f32 v14, -v9, v12, v13
	s_delay_alu instid0(VALU_DEP_1) | instskip(NEXT) | instid1(VALU_DEP_1)
	v_fmac_f32_e32 v12, v14, v11
	v_fma_f32 v9, -v9, v12, v13
	s_delay_alu instid0(VALU_DEP_1) | instskip(NEXT) | instid1(VALU_DEP_1)
	v_div_fmas_f32 v9, v9, v11, v12
	v_div_fixup_f32 v8, v9, v10, v8
	global_store_b32 v[6:7], v8, off offset:12
	flat_load_b32 v8, v[4:5] offset:16
	s_waitcnt vmcnt(0) lgkmcnt(0)
	v_div_scale_f32 v9, null, v10, v10, v8
	v_div_scale_f32 v13, vcc_lo, v8, v10, v8
	s_delay_alu instid0(VALU_DEP_2) | instskip(SKIP_2) | instid1(VALU_DEP_1)
	v_rcp_f32_e32 v11, v9
	s_waitcnt_depctr 0xfff
	v_fma_f32 v12, -v9, v11, 1.0
	v_fmac_f32_e32 v11, v12, v11
	s_delay_alu instid0(VALU_DEP_1) | instskip(NEXT) | instid1(VALU_DEP_1)
	v_mul_f32_e32 v12, v13, v11
	v_fma_f32 v14, -v9, v12, v13
	s_delay_alu instid0(VALU_DEP_1) | instskip(NEXT) | instid1(VALU_DEP_1)
	v_fmac_f32_e32 v12, v14, v11
	v_fma_f32 v9, -v9, v12, v13
	s_delay_alu instid0(VALU_DEP_1) | instskip(NEXT) | instid1(VALU_DEP_1)
	v_div_fmas_f32 v9, v9, v11, v12
	v_div_fixup_f32 v8, v9, v10, v8
	global_store_b32 v[6:7], v8, off offset:16
	flat_load_b32 v8, v[4:5] offset:20
	s_waitcnt vmcnt(0) lgkmcnt(0)
	v_div_scale_f32 v9, null, v10, v10, v8
	v_div_scale_f32 v13, vcc_lo, v8, v10, v8
	s_delay_alu instid0(VALU_DEP_2) | instskip(SKIP_2) | instid1(VALU_DEP_1)
	v_rcp_f32_e32 v11, v9
	s_waitcnt_depctr 0xfff
	v_fma_f32 v12, -v9, v11, 1.0
	v_fmac_f32_e32 v11, v12, v11
	s_delay_alu instid0(VALU_DEP_1) | instskip(NEXT) | instid1(VALU_DEP_1)
	v_mul_f32_e32 v12, v13, v11
	v_fma_f32 v14, -v9, v12, v13
	s_delay_alu instid0(VALU_DEP_1) | instskip(NEXT) | instid1(VALU_DEP_1)
	v_fmac_f32_e32 v12, v14, v11
	v_fma_f32 v9, -v9, v12, v13
	s_delay_alu instid0(VALU_DEP_1) | instskip(NEXT) | instid1(VALU_DEP_1)
	v_div_fmas_f32 v9, v9, v11, v12
	v_div_fixup_f32 v8, v9, v10, v8
	global_store_b32 v[6:7], v8, off offset:20
	flat_load_b32 v8, v[4:5] offset:24
	s_waitcnt vmcnt(0) lgkmcnt(0)
	v_div_scale_f32 v9, null, v10, v10, v8
	v_div_scale_f32 v13, vcc_lo, v8, v10, v8
	s_delay_alu instid0(VALU_DEP_2) | instskip(SKIP_2) | instid1(VALU_DEP_1)
	v_rcp_f32_e32 v11, v9
	s_waitcnt_depctr 0xfff
	v_fma_f32 v12, -v9, v11, 1.0
	v_fmac_f32_e32 v11, v12, v11
	s_delay_alu instid0(VALU_DEP_1) | instskip(NEXT) | instid1(VALU_DEP_1)
	v_mul_f32_e32 v12, v13, v11
	v_fma_f32 v14, -v9, v12, v13
	s_delay_alu instid0(VALU_DEP_1) | instskip(NEXT) | instid1(VALU_DEP_1)
	v_fmac_f32_e32 v12, v14, v11
	v_fma_f32 v9, -v9, v12, v13
	s_delay_alu instid0(VALU_DEP_1) | instskip(NEXT) | instid1(VALU_DEP_1)
	v_div_fmas_f32 v9, v9, v11, v12
	v_div_fixup_f32 v8, v9, v10, v8
	global_store_b32 v[6:7], v8, off offset:24
	flat_load_b32 v4, v[4:5] offset:28
	s_waitcnt vmcnt(0) lgkmcnt(0)
	v_div_scale_f32 v5, null, v10, v10, v4
	v_div_scale_f32 v11, vcc_lo, v4, v10, v4
	s_delay_alu instid0(VALU_DEP_2) | instskip(SKIP_2) | instid1(VALU_DEP_1)
	v_rcp_f32_e32 v8, v5
	s_waitcnt_depctr 0xfff
	v_fma_f32 v9, -v5, v8, 1.0
	v_fmac_f32_e32 v8, v9, v8
	s_delay_alu instid0(VALU_DEP_1) | instskip(NEXT) | instid1(VALU_DEP_1)
	v_mul_f32_e32 v9, v11, v8
	v_fma_f32 v12, -v5, v9, v11
	s_delay_alu instid0(VALU_DEP_1) | instskip(NEXT) | instid1(VALU_DEP_1)
	v_fmac_f32_e32 v9, v12, v8
	v_fma_f32 v5, -v5, v9, v11
	s_delay_alu instid0(VALU_DEP_1) | instskip(NEXT) | instid1(VALU_DEP_1)
	v_div_fmas_f32 v5, v5, v8, v9
	v_div_fixup_f32 v4, v5, v10, v4
	global_store_b32 v[6:7], v4, off offset:28
	s_cbranch_scc1 .LBB17_93
.LBB17_94:
	s_and_b32 s2, s28, 7
	s_mov_b32 s3, 0
	s_delay_alu instid0(SALU_CYCLE_1)
	s_cmp_eq_u64 s[2:3], 0
	s_cbranch_scc1 .LBB17_97
; %bb.95:
	s_mov_b64 s[4:5], s[2:3]
	s_set_inst_prefetch_distance 0x1
	.p2align	6
.LBB17_96:                              ; =>This Inner Loop Header: Depth=1
	s_lshl_b64 s[6:7], s[0:1], 2
	s_add_i32 s2, s0, 1
	v_add_co_u32 v4, vcc_lo, v0, s6
	v_add_co_ci_u32_e32 v5, vcc_lo, s7, v1, vcc_lo
	s_add_u32 s4, s4, -1
	s_addc_u32 s5, s5, -1
	s_mov_b64 s[0:1], s[2:3]
	flat_load_b32 v6, v[4:5]
	s_cmp_lg_u64 s[4:5], 0
	s_waitcnt vmcnt(0) lgkmcnt(0)
	v_div_scale_f32 v4, null, v10, v10, v6
	v_div_scale_f32 v8, vcc_lo, v6, v10, v6
	s_delay_alu instid0(VALU_DEP_2) | instskip(SKIP_2) | instid1(VALU_DEP_1)
	v_rcp_f32_e32 v5, v4
	s_waitcnt_depctr 0xfff
	v_fma_f32 v7, -v4, v5, 1.0
	v_fmac_f32_e32 v5, v7, v5
	s_delay_alu instid0(VALU_DEP_1) | instskip(NEXT) | instid1(VALU_DEP_1)
	v_mul_f32_e32 v7, v8, v5
	v_fma_f32 v9, -v4, v7, v8
	s_delay_alu instid0(VALU_DEP_1) | instskip(NEXT) | instid1(VALU_DEP_1)
	v_fmac_f32_e32 v7, v9, v5
	v_fma_f32 v4, -v4, v7, v8
	s_delay_alu instid0(VALU_DEP_1) | instskip(SKIP_2) | instid1(VALU_DEP_3)
	v_div_fmas_f32 v7, v4, v5, v7
	v_add_co_u32 v4, vcc_lo, v2, s6
	v_add_co_ci_u32_e32 v5, vcc_lo, s7, v3, vcc_lo
	v_div_fixup_f32 v6, v7, v10, v6
	global_store_b32 v[4:5], v6, off
	s_cbranch_scc1 .LBB17_96
.LBB17_97:
	s_set_inst_prefetch_distance 0x2
	s_nop 0
	s_sendmsg sendmsg(MSG_DEALLOC_VGPRS)
	s_endpgm
	.section	.rodata,"a",@progbits
	.p2align	6, 0x0
	.amdhsa_kernel _Z21moe_fused_gate_kernelIDF16_Li12ELi96ELi8ELi1EEvPvS0_PfPilllldi
		.amdhsa_group_segment_fixed_size 0
		.amdhsa_private_segment_fixed_size 0
		.amdhsa_kernarg_size 76
		.amdhsa_user_sgpr_count 15
		.amdhsa_user_sgpr_dispatch_ptr 0
		.amdhsa_user_sgpr_queue_ptr 0
		.amdhsa_user_sgpr_kernarg_segment_ptr 1
		.amdhsa_user_sgpr_dispatch_id 0
		.amdhsa_user_sgpr_private_segment_size 0
		.amdhsa_wavefront_size32 1
		.amdhsa_uses_dynamic_stack 0
		.amdhsa_enable_private_segment 0
		.amdhsa_system_sgpr_workgroup_id_x 1
		.amdhsa_system_sgpr_workgroup_id_y 0
		.amdhsa_system_sgpr_workgroup_id_z 0
		.amdhsa_system_sgpr_workgroup_info 0
		.amdhsa_system_vgpr_workitem_id 1
		.amdhsa_next_free_vgpr 48
		.amdhsa_next_free_sgpr 32
		.amdhsa_reserve_vcc 1
		.amdhsa_float_round_mode_32 0
		.amdhsa_float_round_mode_16_64 0
		.amdhsa_float_denorm_mode_32 3
		.amdhsa_float_denorm_mode_16_64 3
		.amdhsa_dx10_clamp 1
		.amdhsa_ieee_mode 1
		.amdhsa_fp16_overflow 0
		.amdhsa_workgroup_processor_mode 1
		.amdhsa_memory_ordered 1
		.amdhsa_forward_progress 0
		.amdhsa_shared_vgpr_count 0
		.amdhsa_exception_fp_ieee_invalid_op 0
		.amdhsa_exception_fp_denorm_src 0
		.amdhsa_exception_fp_ieee_div_zero 0
		.amdhsa_exception_fp_ieee_overflow 0
		.amdhsa_exception_fp_ieee_underflow 0
		.amdhsa_exception_fp_ieee_inexact 0
		.amdhsa_exception_int_div_zero 0
	.end_amdhsa_kernel
	.section	.text._Z21moe_fused_gate_kernelIDF16_Li12ELi96ELi8ELi1EEvPvS0_PfPilllldi,"axG",@progbits,_Z21moe_fused_gate_kernelIDF16_Li12ELi96ELi8ELi1EEvPvS0_PfPilllldi,comdat
.Lfunc_end17:
	.size	_Z21moe_fused_gate_kernelIDF16_Li12ELi96ELi8ELi1EEvPvS0_PfPilllldi, .Lfunc_end17-_Z21moe_fused_gate_kernelIDF16_Li12ELi96ELi8ELi1EEvPvS0_PfPilllldi
                                        ; -- End function
	.section	.AMDGPU.csdata,"",@progbits
; Kernel info:
; codeLenInByte = 7280
; NumSgprs: 34
; NumVgprs: 48
; ScratchSize: 0
; MemoryBound: 0
; FloatMode: 240
; IeeeMode: 1
; LDSByteSize: 0 bytes/workgroup (compile time only)
; SGPRBlocks: 4
; VGPRBlocks: 5
; NumSGPRsForWavesPerEU: 34
; NumVGPRsForWavesPerEU: 48
; Occupancy: 16
; WaveLimiterHint : 0
; COMPUTE_PGM_RSRC2:SCRATCH_EN: 0
; COMPUTE_PGM_RSRC2:USER_SGPR: 15
; COMPUTE_PGM_RSRC2:TRAP_HANDLER: 0
; COMPUTE_PGM_RSRC2:TGID_X_EN: 1
; COMPUTE_PGM_RSRC2:TGID_Y_EN: 0
; COMPUTE_PGM_RSRC2:TGID_Z_EN: 0
; COMPUTE_PGM_RSRC2:TIDIG_COMP_CNT: 1
	.section	.text._Z21moe_fused_gate_kernelIfLi12ELi96ELi8ELi1EEvPvS0_PfPilllldi,"axG",@progbits,_Z21moe_fused_gate_kernelIfLi12ELi96ELi8ELi1EEvPvS0_PfPilllldi,comdat
	.protected	_Z21moe_fused_gate_kernelIfLi12ELi96ELi8ELi1EEvPvS0_PfPilllldi ; -- Begin function _Z21moe_fused_gate_kernelIfLi12ELi96ELi8ELi1EEvPvS0_PfPilllldi
	.globl	_Z21moe_fused_gate_kernelIfLi12ELi96ELi8ELi1EEvPvS0_PfPilllldi
	.p2align	8
	.type	_Z21moe_fused_gate_kernelIfLi12ELi96ELi8ELi1EEvPvS0_PfPilllldi,@function
_Z21moe_fused_gate_kernelIfLi12ELi96ELi8ELi1EEvPvS0_PfPilllldi: ; @_Z21moe_fused_gate_kernelIfLi12ELi96ELi8ELi1EEvPvS0_PfPilllldi
; %bb.0:
	s_load_b512 s[16:31], s[0:1], 0x0
	v_bfe_u32 v1, v0, 10, 10
	s_mov_b32 s2, exec_lo
	v_mov_b32_e32 v28, 0
	v_and_b32_e32 v0, 0x3ff, v0
	s_delay_alu instid0(VALU_DEP_3) | instskip(NEXT) | instid1(VALU_DEP_3)
	v_add_nc_u32_e32 v1, s15, v1
	v_mov_b32_e32 v25, v28
	s_delay_alu instid0(VALU_DEP_3) | instskip(NEXT) | instid1(VALU_DEP_1)
	v_lshrrev_b32_e32 v30, 3, v0
	v_lshl_add_u32 v24, v1, 2, v30
	s_waitcnt lgkmcnt(0)
	s_delay_alu instid0(VALU_DEP_1)
	v_cmpx_gt_i64_e64 s[24:25], v[24:25]
	s_cbranch_execz .LBB18_97
; %bb.1:
	v_and_b32_e32 v26, 7, v0
	v_mad_u64_u32 v[0:1], null, 0x180, v24, s[16:17]
	s_mov_b32 s2, exec_lo
	s_delay_alu instid0(VALU_DEP_2) | instskip(NEXT) | instid1(VALU_DEP_1)
	v_mul_u32_u24_e32 v27, 12, v26
	v_lshlrev_b32_e32 v8, 2, v27
	s_delay_alu instid0(VALU_DEP_1) | instskip(NEXT) | instid1(VALU_DEP_4)
	v_add_co_u32 v0, vcc_lo, v0, v8
	v_add_co_ci_u32_e32 v1, vcc_lo, 0, v1, vcc_lo
	s_clause 0x2
	global_load_b128 v[20:23], v[0:1], off
	global_load_b128 v[16:19], v[0:1], off offset:16
	global_load_b128 v[12:15], v[0:1], off offset:32
	s_clause 0x2
	global_load_b128 v[0:3], v8, s[18:19] offset:32
	global_load_b128 v[4:7], v8, s[18:19] offset:16
	global_load_b128 v[8:11], v8, s[18:19]
	s_waitcnt vmcnt(5)
	v_cmpx_o_f32_e32 v20, v20
	s_cbranch_execz .LBB18_3
; %bb.2:
	v_mul_f32_e32 v28, 0xbfb8aa3b, v20
	v_cmp_nlt_f32_e32 vcc_lo, 0x42ce8ed0, v20
	s_delay_alu instid0(VALU_DEP_2) | instskip(SKIP_1) | instid1(VALU_DEP_2)
	v_rndne_f32_e32 v29, v28
	v_fma_f32 v31, 0xbfb8aa3b, v20, -v28
	v_sub_f32_e32 v28, v28, v29
	s_delay_alu instid0(VALU_DEP_2) | instskip(SKIP_1) | instid1(VALU_DEP_2)
	v_fmamk_f32 v31, v20, 0xb2a5705f, v31
	v_cvt_i32_f32_e32 v29, v29
	v_add_f32_e32 v28, v28, v31
	s_delay_alu instid0(VALU_DEP_1) | instskip(SKIP_2) | instid1(VALU_DEP_1)
	v_exp_f32_e32 v28, v28
	s_waitcnt_depctr 0xfff
	v_ldexp_f32 v28, v28, v29
	v_cndmask_b32_e32 v28, 0, v28, vcc_lo
	v_cmp_ngt_f32_e32 vcc_lo, 0xc2b17218, v20
	s_delay_alu instid0(VALU_DEP_2) | instskip(NEXT) | instid1(VALU_DEP_1)
	v_cndmask_b32_e32 v20, 0x7f800000, v28, vcc_lo
	v_add_f32_e32 v20, 1.0, v20
	s_delay_alu instid0(VALU_DEP_1) | instskip(NEXT) | instid1(VALU_DEP_1)
	v_div_scale_f32 v28, null, v20, v20, 1.0
	v_rcp_f32_e32 v29, v28
	s_waitcnt_depctr 0xfff
	v_fma_f32 v31, -v28, v29, 1.0
	s_delay_alu instid0(VALU_DEP_1) | instskip(SKIP_1) | instid1(VALU_DEP_1)
	v_fmac_f32_e32 v29, v31, v29
	v_div_scale_f32 v31, vcc_lo, 1.0, v20, 1.0
	v_mul_f32_e32 v32, v31, v29
	s_delay_alu instid0(VALU_DEP_1) | instskip(NEXT) | instid1(VALU_DEP_1)
	v_fma_f32 v33, -v28, v32, v31
	v_fmac_f32_e32 v32, v33, v29
	s_delay_alu instid0(VALU_DEP_1) | instskip(NEXT) | instid1(VALU_DEP_1)
	v_fma_f32 v28, -v28, v32, v31
	v_div_fmas_f32 v28, v28, v29, v32
	s_delay_alu instid0(VALU_DEP_1)
	v_div_fixup_f32 v28, v28, v20, 1.0
.LBB18_3:
	s_or_b32 exec_lo, exec_lo, s2
	v_dual_mov_b32 v20, 0 :: v_dual_mov_b32 v29, 0
	s_mov_b32 s2, exec_lo
	v_cmpx_o_f32_e32 v21, v21
	s_cbranch_execz .LBB18_5
; %bb.4:
	v_mul_f32_e32 v29, 0xbfb8aa3b, v21
	v_cmp_nlt_f32_e32 vcc_lo, 0x42ce8ed0, v21
	s_delay_alu instid0(VALU_DEP_2) | instskip(SKIP_1) | instid1(VALU_DEP_2)
	v_rndne_f32_e32 v31, v29
	v_fma_f32 v32, 0xbfb8aa3b, v21, -v29
	v_sub_f32_e32 v29, v29, v31
	s_delay_alu instid0(VALU_DEP_2) | instskip(SKIP_1) | instid1(VALU_DEP_2)
	v_fmamk_f32 v32, v21, 0xb2a5705f, v32
	v_cvt_i32_f32_e32 v31, v31
	v_add_f32_e32 v29, v29, v32
	s_delay_alu instid0(VALU_DEP_1) | instskip(SKIP_2) | instid1(VALU_DEP_1)
	v_exp_f32_e32 v29, v29
	s_waitcnt_depctr 0xfff
	v_ldexp_f32 v29, v29, v31
	v_cndmask_b32_e32 v29, 0, v29, vcc_lo
	v_cmp_ngt_f32_e32 vcc_lo, 0xc2b17218, v21
	s_delay_alu instid0(VALU_DEP_2) | instskip(NEXT) | instid1(VALU_DEP_1)
	v_cndmask_b32_e32 v21, 0x7f800000, v29, vcc_lo
	v_add_f32_e32 v21, 1.0, v21
	s_delay_alu instid0(VALU_DEP_1) | instskip(NEXT) | instid1(VALU_DEP_1)
	v_div_scale_f32 v29, null, v21, v21, 1.0
	v_rcp_f32_e32 v31, v29
	s_waitcnt_depctr 0xfff
	v_fma_f32 v32, -v29, v31, 1.0
	s_delay_alu instid0(VALU_DEP_1) | instskip(SKIP_1) | instid1(VALU_DEP_1)
	v_fmac_f32_e32 v31, v32, v31
	v_div_scale_f32 v32, vcc_lo, 1.0, v21, 1.0
	v_mul_f32_e32 v33, v32, v31
	s_delay_alu instid0(VALU_DEP_1) | instskip(NEXT) | instid1(VALU_DEP_1)
	v_fma_f32 v34, -v29, v33, v32
	v_fmac_f32_e32 v33, v34, v31
	s_delay_alu instid0(VALU_DEP_1) | instskip(NEXT) | instid1(VALU_DEP_1)
	v_fma_f32 v29, -v29, v33, v32
	v_div_fmas_f32 v29, v29, v31, v33
	s_delay_alu instid0(VALU_DEP_1)
	v_div_fixup_f32 v29, v29, v21, 1.0
.LBB18_5:
	s_or_b32 exec_lo, exec_lo, s2
	s_delay_alu instid0(SALU_CYCLE_1)
	s_mov_b32 s2, exec_lo
	v_cmpx_o_f32_e32 v22, v22
	s_cbranch_execz .LBB18_7
; %bb.6:
	v_mul_f32_e32 v20, 0xbfb8aa3b, v22
	v_cmp_nlt_f32_e32 vcc_lo, 0x42ce8ed0, v22
	s_delay_alu instid0(VALU_DEP_2) | instskip(SKIP_1) | instid1(VALU_DEP_1)
	v_rndne_f32_e32 v21, v20
	v_fma_f32 v31, 0xbfb8aa3b, v22, -v20
	v_dual_sub_f32 v20, v20, v21 :: v_dual_fmamk_f32 v31, v22, 0xb2a5705f, v31
	v_cvt_i32_f32_e32 v21, v21
	s_delay_alu instid0(VALU_DEP_2) | instskip(NEXT) | instid1(VALU_DEP_1)
	v_add_f32_e32 v20, v20, v31
	v_exp_f32_e32 v20, v20
	s_waitcnt_depctr 0xfff
	v_ldexp_f32 v20, v20, v21
	s_delay_alu instid0(VALU_DEP_1) | instskip(SKIP_1) | instid1(VALU_DEP_2)
	v_cndmask_b32_e32 v20, 0, v20, vcc_lo
	v_cmp_ngt_f32_e32 vcc_lo, 0xc2b17218, v22
	v_cndmask_b32_e32 v20, 0x7f800000, v20, vcc_lo
	s_delay_alu instid0(VALU_DEP_1) | instskip(NEXT) | instid1(VALU_DEP_1)
	v_add_f32_e32 v20, 1.0, v20
	v_div_scale_f32 v21, null, v20, v20, 1.0
	s_delay_alu instid0(VALU_DEP_1) | instskip(SKIP_2) | instid1(VALU_DEP_1)
	v_rcp_f32_e32 v22, v21
	s_waitcnt_depctr 0xfff
	v_fma_f32 v31, -v21, v22, 1.0
	v_fmac_f32_e32 v22, v31, v22
	v_div_scale_f32 v31, vcc_lo, 1.0, v20, 1.0
	s_delay_alu instid0(VALU_DEP_1) | instskip(NEXT) | instid1(VALU_DEP_1)
	v_mul_f32_e32 v32, v31, v22
	v_fma_f32 v33, -v21, v32, v31
	s_delay_alu instid0(VALU_DEP_1) | instskip(NEXT) | instid1(VALU_DEP_1)
	v_fmac_f32_e32 v32, v33, v22
	v_fma_f32 v21, -v21, v32, v31
	s_delay_alu instid0(VALU_DEP_1) | instskip(NEXT) | instid1(VALU_DEP_1)
	v_div_fmas_f32 v21, v21, v22, v32
	v_div_fixup_f32 v20, v21, v20, 1.0
.LBB18_7:
	s_or_b32 exec_lo, exec_lo, s2
	v_dual_mov_b32 v21, 0 :: v_dual_mov_b32 v22, 0
	s_mov_b32 s2, exec_lo
	v_cmpx_o_f32_e32 v23, v23
	s_cbranch_execz .LBB18_9
; %bb.8:
	v_mul_f32_e32 v22, 0xbfb8aa3b, v23
	v_cmp_nlt_f32_e32 vcc_lo, 0x42ce8ed0, v23
	s_delay_alu instid0(VALU_DEP_2) | instskip(SKIP_1) | instid1(VALU_DEP_2)
	v_rndne_f32_e32 v31, v22
	v_fma_f32 v32, 0xbfb8aa3b, v23, -v22
	v_sub_f32_e32 v22, v22, v31
	s_delay_alu instid0(VALU_DEP_2) | instskip(SKIP_1) | instid1(VALU_DEP_2)
	v_fmamk_f32 v32, v23, 0xb2a5705f, v32
	v_cvt_i32_f32_e32 v31, v31
	v_add_f32_e32 v22, v22, v32
	s_delay_alu instid0(VALU_DEP_1) | instskip(SKIP_2) | instid1(VALU_DEP_1)
	v_exp_f32_e32 v22, v22
	s_waitcnt_depctr 0xfff
	v_ldexp_f32 v22, v22, v31
	v_cndmask_b32_e32 v22, 0, v22, vcc_lo
	v_cmp_ngt_f32_e32 vcc_lo, 0xc2b17218, v23
	s_delay_alu instid0(VALU_DEP_2) | instskip(NEXT) | instid1(VALU_DEP_1)
	v_cndmask_b32_e32 v22, 0x7f800000, v22, vcc_lo
	v_add_f32_e32 v22, 1.0, v22
	s_delay_alu instid0(VALU_DEP_1) | instskip(NEXT) | instid1(VALU_DEP_1)
	v_div_scale_f32 v23, null, v22, v22, 1.0
	v_rcp_f32_e32 v31, v23
	s_waitcnt_depctr 0xfff
	v_fma_f32 v32, -v23, v31, 1.0
	s_delay_alu instid0(VALU_DEP_1) | instskip(SKIP_1) | instid1(VALU_DEP_1)
	v_fmac_f32_e32 v31, v32, v31
	v_div_scale_f32 v32, vcc_lo, 1.0, v22, 1.0
	v_mul_f32_e32 v33, v32, v31
	s_delay_alu instid0(VALU_DEP_1) | instskip(NEXT) | instid1(VALU_DEP_1)
	v_fma_f32 v34, -v23, v33, v32
	v_fmac_f32_e32 v33, v34, v31
	s_delay_alu instid0(VALU_DEP_1) | instskip(NEXT) | instid1(VALU_DEP_1)
	v_fma_f32 v23, -v23, v33, v32
	v_div_fmas_f32 v23, v23, v31, v33
	s_delay_alu instid0(VALU_DEP_1)
	v_div_fixup_f32 v22, v23, v22, 1.0
.LBB18_9:
	s_or_b32 exec_lo, exec_lo, s2
	s_delay_alu instid0(SALU_CYCLE_1)
	s_mov_b32 s2, exec_lo
	s_waitcnt vmcnt(4)
	v_cmpx_o_f32_e32 v16, v16
	s_cbranch_execz .LBB18_11
; %bb.10:
	v_mul_f32_e32 v21, 0xbfb8aa3b, v16
	v_cmp_nlt_f32_e32 vcc_lo, 0x42ce8ed0, v16
	s_delay_alu instid0(VALU_DEP_2) | instskip(SKIP_1) | instid1(VALU_DEP_2)
	v_rndne_f32_e32 v23, v21
	v_fma_f32 v31, 0xbfb8aa3b, v16, -v21
	v_sub_f32_e32 v21, v21, v23
	s_delay_alu instid0(VALU_DEP_2) | instskip(SKIP_1) | instid1(VALU_DEP_2)
	v_fmamk_f32 v31, v16, 0xb2a5705f, v31
	v_cvt_i32_f32_e32 v23, v23
	v_add_f32_e32 v21, v21, v31
	s_delay_alu instid0(VALU_DEP_1) | instskip(SKIP_2) | instid1(VALU_DEP_1)
	v_exp_f32_e32 v21, v21
	s_waitcnt_depctr 0xfff
	v_ldexp_f32 v21, v21, v23
	v_cndmask_b32_e32 v21, 0, v21, vcc_lo
	v_cmp_ngt_f32_e32 vcc_lo, 0xc2b17218, v16
	s_delay_alu instid0(VALU_DEP_2) | instskip(NEXT) | instid1(VALU_DEP_1)
	v_cndmask_b32_e32 v16, 0x7f800000, v21, vcc_lo
	v_add_f32_e32 v16, 1.0, v16
	s_delay_alu instid0(VALU_DEP_1) | instskip(NEXT) | instid1(VALU_DEP_1)
	v_div_scale_f32 v21, null, v16, v16, 1.0
	v_rcp_f32_e32 v23, v21
	s_waitcnt_depctr 0xfff
	v_fma_f32 v31, -v21, v23, 1.0
	s_delay_alu instid0(VALU_DEP_1) | instskip(SKIP_1) | instid1(VALU_DEP_1)
	v_fmac_f32_e32 v23, v31, v23
	v_div_scale_f32 v31, vcc_lo, 1.0, v16, 1.0
	v_mul_f32_e32 v32, v31, v23
	s_delay_alu instid0(VALU_DEP_1) | instskip(NEXT) | instid1(VALU_DEP_1)
	v_fma_f32 v33, -v21, v32, v31
	v_fmac_f32_e32 v32, v33, v23
	s_delay_alu instid0(VALU_DEP_1) | instskip(NEXT) | instid1(VALU_DEP_1)
	v_fma_f32 v21, -v21, v32, v31
	v_div_fmas_f32 v21, v21, v23, v32
	s_delay_alu instid0(VALU_DEP_1)
	v_div_fixup_f32 v21, v21, v16, 1.0
.LBB18_11:
	s_or_b32 exec_lo, exec_lo, s2
	v_dual_mov_b32 v16, 0 :: v_dual_mov_b32 v23, 0
	s_mov_b32 s2, exec_lo
	v_cmpx_o_f32_e32 v17, v17
	s_cbranch_execz .LBB18_13
; %bb.12:
	v_mul_f32_e32 v23, 0xbfb8aa3b, v17
	v_cmp_nlt_f32_e32 vcc_lo, 0x42ce8ed0, v17
	s_delay_alu instid0(VALU_DEP_2) | instskip(SKIP_1) | instid1(VALU_DEP_1)
	v_rndne_f32_e32 v31, v23
	v_fma_f32 v32, 0xbfb8aa3b, v17, -v23
	v_dual_sub_f32 v23, v23, v31 :: v_dual_fmamk_f32 v32, v17, 0xb2a5705f, v32
	v_cvt_i32_f32_e32 v31, v31
	s_delay_alu instid0(VALU_DEP_2) | instskip(NEXT) | instid1(VALU_DEP_1)
	v_add_f32_e32 v23, v23, v32
	v_exp_f32_e32 v23, v23
	s_waitcnt_depctr 0xfff
	v_ldexp_f32 v23, v23, v31
	s_delay_alu instid0(VALU_DEP_1) | instskip(SKIP_1) | instid1(VALU_DEP_2)
	v_cndmask_b32_e32 v23, 0, v23, vcc_lo
	v_cmp_ngt_f32_e32 vcc_lo, 0xc2b17218, v17
	v_cndmask_b32_e32 v17, 0x7f800000, v23, vcc_lo
	s_delay_alu instid0(VALU_DEP_1) | instskip(NEXT) | instid1(VALU_DEP_1)
	v_add_f32_e32 v17, 1.0, v17
	v_div_scale_f32 v23, null, v17, v17, 1.0
	s_delay_alu instid0(VALU_DEP_1) | instskip(SKIP_2) | instid1(VALU_DEP_1)
	v_rcp_f32_e32 v31, v23
	s_waitcnt_depctr 0xfff
	v_fma_f32 v32, -v23, v31, 1.0
	v_fmac_f32_e32 v31, v32, v31
	v_div_scale_f32 v32, vcc_lo, 1.0, v17, 1.0
	s_delay_alu instid0(VALU_DEP_1) | instskip(NEXT) | instid1(VALU_DEP_1)
	v_mul_f32_e32 v33, v32, v31
	v_fma_f32 v34, -v23, v33, v32
	s_delay_alu instid0(VALU_DEP_1) | instskip(NEXT) | instid1(VALU_DEP_1)
	v_fmac_f32_e32 v33, v34, v31
	v_fma_f32 v23, -v23, v33, v32
	s_delay_alu instid0(VALU_DEP_1) | instskip(NEXT) | instid1(VALU_DEP_1)
	v_div_fmas_f32 v23, v23, v31, v33
	v_div_fixup_f32 v23, v23, v17, 1.0
.LBB18_13:
	s_or_b32 exec_lo, exec_lo, s2
	s_delay_alu instid0(SALU_CYCLE_1)
	s_mov_b32 s2, exec_lo
	v_cmpx_o_f32_e32 v18, v18
	s_cbranch_execz .LBB18_15
; %bb.14:
	v_mul_f32_e32 v16, 0xbfb8aa3b, v18
	v_cmp_nlt_f32_e32 vcc_lo, 0x42ce8ed0, v18
	s_delay_alu instid0(VALU_DEP_2) | instskip(SKIP_1) | instid1(VALU_DEP_1)
	v_rndne_f32_e32 v17, v16
	v_fma_f32 v31, 0xbfb8aa3b, v18, -v16
	v_dual_sub_f32 v16, v16, v17 :: v_dual_fmamk_f32 v31, v18, 0xb2a5705f, v31
	v_cvt_i32_f32_e32 v17, v17
	s_delay_alu instid0(VALU_DEP_2) | instskip(NEXT) | instid1(VALU_DEP_1)
	v_add_f32_e32 v16, v16, v31
	v_exp_f32_e32 v16, v16
	s_waitcnt_depctr 0xfff
	v_ldexp_f32 v16, v16, v17
	s_delay_alu instid0(VALU_DEP_1) | instskip(SKIP_1) | instid1(VALU_DEP_2)
	v_cndmask_b32_e32 v16, 0, v16, vcc_lo
	v_cmp_ngt_f32_e32 vcc_lo, 0xc2b17218, v18
	v_cndmask_b32_e32 v16, 0x7f800000, v16, vcc_lo
	s_delay_alu instid0(VALU_DEP_1) | instskip(NEXT) | instid1(VALU_DEP_1)
	v_add_f32_e32 v16, 1.0, v16
	v_div_scale_f32 v17, null, v16, v16, 1.0
	s_delay_alu instid0(VALU_DEP_1) | instskip(SKIP_2) | instid1(VALU_DEP_1)
	v_rcp_f32_e32 v18, v17
	s_waitcnt_depctr 0xfff
	v_fma_f32 v31, -v17, v18, 1.0
	v_fmac_f32_e32 v18, v31, v18
	v_div_scale_f32 v31, vcc_lo, 1.0, v16, 1.0
	s_delay_alu instid0(VALU_DEP_1) | instskip(NEXT) | instid1(VALU_DEP_1)
	v_mul_f32_e32 v32, v31, v18
	v_fma_f32 v33, -v17, v32, v31
	s_delay_alu instid0(VALU_DEP_1) | instskip(NEXT) | instid1(VALU_DEP_1)
	v_fmac_f32_e32 v32, v33, v18
	v_fma_f32 v17, -v17, v32, v31
	s_delay_alu instid0(VALU_DEP_1) | instskip(NEXT) | instid1(VALU_DEP_1)
	v_div_fmas_f32 v17, v17, v18, v32
	v_div_fixup_f32 v16, v17, v16, 1.0
.LBB18_15:
	s_or_b32 exec_lo, exec_lo, s2
	v_dual_mov_b32 v17, 0 :: v_dual_mov_b32 v18, 0
	s_mov_b32 s2, exec_lo
	v_cmpx_o_f32_e32 v19, v19
	s_cbranch_execz .LBB18_17
; %bb.16:
	v_mul_f32_e32 v18, 0xbfb8aa3b, v19
	v_cmp_nlt_f32_e32 vcc_lo, 0x42ce8ed0, v19
	s_delay_alu instid0(VALU_DEP_2) | instskip(SKIP_1) | instid1(VALU_DEP_2)
	v_rndne_f32_e32 v31, v18
	v_fma_f32 v32, 0xbfb8aa3b, v19, -v18
	v_sub_f32_e32 v18, v18, v31
	s_delay_alu instid0(VALU_DEP_2) | instskip(SKIP_1) | instid1(VALU_DEP_2)
	v_fmamk_f32 v32, v19, 0xb2a5705f, v32
	v_cvt_i32_f32_e32 v31, v31
	v_add_f32_e32 v18, v18, v32
	s_delay_alu instid0(VALU_DEP_1) | instskip(SKIP_2) | instid1(VALU_DEP_1)
	v_exp_f32_e32 v18, v18
	s_waitcnt_depctr 0xfff
	v_ldexp_f32 v18, v18, v31
	v_cndmask_b32_e32 v18, 0, v18, vcc_lo
	v_cmp_ngt_f32_e32 vcc_lo, 0xc2b17218, v19
	s_delay_alu instid0(VALU_DEP_2) | instskip(NEXT) | instid1(VALU_DEP_1)
	v_cndmask_b32_e32 v18, 0x7f800000, v18, vcc_lo
	v_add_f32_e32 v18, 1.0, v18
	s_delay_alu instid0(VALU_DEP_1) | instskip(NEXT) | instid1(VALU_DEP_1)
	v_div_scale_f32 v19, null, v18, v18, 1.0
	v_rcp_f32_e32 v31, v19
	s_waitcnt_depctr 0xfff
	v_fma_f32 v32, -v19, v31, 1.0
	s_delay_alu instid0(VALU_DEP_1) | instskip(SKIP_1) | instid1(VALU_DEP_1)
	v_fmac_f32_e32 v31, v32, v31
	v_div_scale_f32 v32, vcc_lo, 1.0, v18, 1.0
	v_mul_f32_e32 v33, v32, v31
	s_delay_alu instid0(VALU_DEP_1) | instskip(NEXT) | instid1(VALU_DEP_1)
	v_fma_f32 v34, -v19, v33, v32
	v_fmac_f32_e32 v33, v34, v31
	s_delay_alu instid0(VALU_DEP_1) | instskip(NEXT) | instid1(VALU_DEP_1)
	v_fma_f32 v19, -v19, v33, v32
	v_div_fmas_f32 v19, v19, v31, v33
	s_delay_alu instid0(VALU_DEP_1)
	v_div_fixup_f32 v18, v19, v18, 1.0
.LBB18_17:
	s_or_b32 exec_lo, exec_lo, s2
	s_delay_alu instid0(SALU_CYCLE_1)
	s_mov_b32 s2, exec_lo
	s_waitcnt vmcnt(3)
	v_cmpx_o_f32_e32 v12, v12
	s_cbranch_execz .LBB18_19
; %bb.18:
	v_mul_f32_e32 v17, 0xbfb8aa3b, v12
	v_cmp_nlt_f32_e32 vcc_lo, 0x42ce8ed0, v12
	s_delay_alu instid0(VALU_DEP_2) | instskip(SKIP_1) | instid1(VALU_DEP_2)
	v_rndne_f32_e32 v19, v17
	v_fma_f32 v31, 0xbfb8aa3b, v12, -v17
	v_sub_f32_e32 v17, v17, v19
	s_delay_alu instid0(VALU_DEP_2) | instskip(SKIP_1) | instid1(VALU_DEP_2)
	v_fmamk_f32 v31, v12, 0xb2a5705f, v31
	v_cvt_i32_f32_e32 v19, v19
	v_add_f32_e32 v17, v17, v31
	s_delay_alu instid0(VALU_DEP_1) | instskip(SKIP_2) | instid1(VALU_DEP_1)
	v_exp_f32_e32 v17, v17
	s_waitcnt_depctr 0xfff
	v_ldexp_f32 v17, v17, v19
	v_cndmask_b32_e32 v17, 0, v17, vcc_lo
	v_cmp_ngt_f32_e32 vcc_lo, 0xc2b17218, v12
	s_delay_alu instid0(VALU_DEP_2) | instskip(NEXT) | instid1(VALU_DEP_1)
	v_cndmask_b32_e32 v12, 0x7f800000, v17, vcc_lo
	v_add_f32_e32 v12, 1.0, v12
	s_delay_alu instid0(VALU_DEP_1) | instskip(NEXT) | instid1(VALU_DEP_1)
	v_div_scale_f32 v17, null, v12, v12, 1.0
	v_rcp_f32_e32 v19, v17
	s_waitcnt_depctr 0xfff
	v_fma_f32 v31, -v17, v19, 1.0
	s_delay_alu instid0(VALU_DEP_1) | instskip(SKIP_1) | instid1(VALU_DEP_1)
	v_fmac_f32_e32 v19, v31, v19
	v_div_scale_f32 v31, vcc_lo, 1.0, v12, 1.0
	v_mul_f32_e32 v32, v31, v19
	s_delay_alu instid0(VALU_DEP_1) | instskip(NEXT) | instid1(VALU_DEP_1)
	v_fma_f32 v33, -v17, v32, v31
	v_fmac_f32_e32 v32, v33, v19
	s_delay_alu instid0(VALU_DEP_1) | instskip(NEXT) | instid1(VALU_DEP_1)
	v_fma_f32 v17, -v17, v32, v31
	v_div_fmas_f32 v17, v17, v19, v32
	s_delay_alu instid0(VALU_DEP_1)
	v_div_fixup_f32 v17, v17, v12, 1.0
.LBB18_19:
	s_or_b32 exec_lo, exec_lo, s2
	v_dual_mov_b32 v12, 0 :: v_dual_mov_b32 v19, 0
	s_mov_b32 s2, exec_lo
	v_cmpx_o_f32_e32 v13, v13
	s_cbranch_execz .LBB18_21
; %bb.20:
	v_mul_f32_e32 v19, 0xbfb8aa3b, v13
	v_cmp_nlt_f32_e32 vcc_lo, 0x42ce8ed0, v13
	s_delay_alu instid0(VALU_DEP_2) | instskip(SKIP_1) | instid1(VALU_DEP_1)
	v_rndne_f32_e32 v31, v19
	v_fma_f32 v32, 0xbfb8aa3b, v13, -v19
	v_dual_sub_f32 v19, v19, v31 :: v_dual_fmamk_f32 v32, v13, 0xb2a5705f, v32
	v_cvt_i32_f32_e32 v31, v31
	s_delay_alu instid0(VALU_DEP_2) | instskip(NEXT) | instid1(VALU_DEP_1)
	v_add_f32_e32 v19, v19, v32
	v_exp_f32_e32 v19, v19
	s_waitcnt_depctr 0xfff
	v_ldexp_f32 v19, v19, v31
	s_delay_alu instid0(VALU_DEP_1) | instskip(SKIP_1) | instid1(VALU_DEP_2)
	v_cndmask_b32_e32 v19, 0, v19, vcc_lo
	v_cmp_ngt_f32_e32 vcc_lo, 0xc2b17218, v13
	v_cndmask_b32_e32 v13, 0x7f800000, v19, vcc_lo
	s_delay_alu instid0(VALU_DEP_1) | instskip(NEXT) | instid1(VALU_DEP_1)
	v_add_f32_e32 v13, 1.0, v13
	v_div_scale_f32 v19, null, v13, v13, 1.0
	s_delay_alu instid0(VALU_DEP_1) | instskip(SKIP_2) | instid1(VALU_DEP_1)
	v_rcp_f32_e32 v31, v19
	s_waitcnt_depctr 0xfff
	v_fma_f32 v32, -v19, v31, 1.0
	v_fmac_f32_e32 v31, v32, v31
	v_div_scale_f32 v32, vcc_lo, 1.0, v13, 1.0
	s_delay_alu instid0(VALU_DEP_1) | instskip(NEXT) | instid1(VALU_DEP_1)
	v_mul_f32_e32 v33, v32, v31
	v_fma_f32 v34, -v19, v33, v32
	s_delay_alu instid0(VALU_DEP_1) | instskip(NEXT) | instid1(VALU_DEP_1)
	v_fmac_f32_e32 v33, v34, v31
	v_fma_f32 v19, -v19, v33, v32
	s_delay_alu instid0(VALU_DEP_1) | instskip(NEXT) | instid1(VALU_DEP_1)
	v_div_fmas_f32 v19, v19, v31, v33
	v_div_fixup_f32 v19, v19, v13, 1.0
.LBB18_21:
	s_or_b32 exec_lo, exec_lo, s2
	s_delay_alu instid0(SALU_CYCLE_1)
	s_mov_b32 s2, exec_lo
	v_cmpx_o_f32_e32 v14, v14
	s_cbranch_execz .LBB18_23
; %bb.22:
	v_mul_f32_e32 v12, 0xbfb8aa3b, v14
	v_cmp_nlt_f32_e32 vcc_lo, 0x42ce8ed0, v14
	s_delay_alu instid0(VALU_DEP_2) | instskip(SKIP_1) | instid1(VALU_DEP_1)
	v_rndne_f32_e32 v13, v12
	v_fma_f32 v31, 0xbfb8aa3b, v14, -v12
	v_dual_sub_f32 v12, v12, v13 :: v_dual_fmamk_f32 v31, v14, 0xb2a5705f, v31
	v_cvt_i32_f32_e32 v13, v13
	s_delay_alu instid0(VALU_DEP_2) | instskip(NEXT) | instid1(VALU_DEP_1)
	v_add_f32_e32 v12, v12, v31
	v_exp_f32_e32 v12, v12
	s_waitcnt_depctr 0xfff
	v_ldexp_f32 v12, v12, v13
	s_delay_alu instid0(VALU_DEP_1) | instskip(SKIP_1) | instid1(VALU_DEP_2)
	v_cndmask_b32_e32 v12, 0, v12, vcc_lo
	v_cmp_ngt_f32_e32 vcc_lo, 0xc2b17218, v14
	v_cndmask_b32_e32 v12, 0x7f800000, v12, vcc_lo
	s_delay_alu instid0(VALU_DEP_1) | instskip(NEXT) | instid1(VALU_DEP_1)
	v_add_f32_e32 v12, 1.0, v12
	v_div_scale_f32 v13, null, v12, v12, 1.0
	s_delay_alu instid0(VALU_DEP_1) | instskip(SKIP_2) | instid1(VALU_DEP_1)
	v_rcp_f32_e32 v14, v13
	s_waitcnt_depctr 0xfff
	v_fma_f32 v31, -v13, v14, 1.0
	v_fmac_f32_e32 v14, v31, v14
	v_div_scale_f32 v31, vcc_lo, 1.0, v12, 1.0
	s_delay_alu instid0(VALU_DEP_1) | instskip(NEXT) | instid1(VALU_DEP_1)
	v_mul_f32_e32 v32, v31, v14
	v_fma_f32 v33, -v13, v32, v31
	s_delay_alu instid0(VALU_DEP_1) | instskip(NEXT) | instid1(VALU_DEP_1)
	v_fmac_f32_e32 v32, v33, v14
	v_fma_f32 v13, -v13, v32, v31
	s_delay_alu instid0(VALU_DEP_1) | instskip(NEXT) | instid1(VALU_DEP_1)
	v_div_fmas_f32 v13, v13, v14, v32
	v_div_fixup_f32 v12, v13, v12, 1.0
.LBB18_23:
	s_or_b32 exec_lo, exec_lo, s2
	v_mov_b32_e32 v13, 0
	s_mov_b32 s2, exec_lo
	v_cmpx_o_f32_e32 v15, v15
	s_cbranch_execz .LBB18_25
; %bb.24:
	v_mul_f32_e32 v13, 0xbfb8aa3b, v15
	v_cmp_nlt_f32_e32 vcc_lo, 0x42ce8ed0, v15
	s_delay_alu instid0(VALU_DEP_2) | instskip(SKIP_1) | instid1(VALU_DEP_2)
	v_rndne_f32_e32 v14, v13
	v_fma_f32 v31, 0xbfb8aa3b, v15, -v13
	v_sub_f32_e32 v13, v13, v14
	s_delay_alu instid0(VALU_DEP_2) | instskip(SKIP_1) | instid1(VALU_DEP_2)
	v_fmamk_f32 v31, v15, 0xb2a5705f, v31
	v_cvt_i32_f32_e32 v14, v14
	v_add_f32_e32 v13, v13, v31
	s_delay_alu instid0(VALU_DEP_1) | instskip(SKIP_2) | instid1(VALU_DEP_1)
	v_exp_f32_e32 v13, v13
	s_waitcnt_depctr 0xfff
	v_ldexp_f32 v13, v13, v14
	v_cndmask_b32_e32 v13, 0, v13, vcc_lo
	v_cmp_ngt_f32_e32 vcc_lo, 0xc2b17218, v15
	s_delay_alu instid0(VALU_DEP_2) | instskip(NEXT) | instid1(VALU_DEP_1)
	v_cndmask_b32_e32 v13, 0x7f800000, v13, vcc_lo
	v_add_f32_e32 v13, 1.0, v13
	s_delay_alu instid0(VALU_DEP_1) | instskip(NEXT) | instid1(VALU_DEP_1)
	v_div_scale_f32 v14, null, v13, v13, 1.0
	v_rcp_f32_e32 v15, v14
	s_waitcnt_depctr 0xfff
	v_fma_f32 v31, -v14, v15, 1.0
	s_delay_alu instid0(VALU_DEP_1) | instskip(SKIP_1) | instid1(VALU_DEP_1)
	v_fmac_f32_e32 v15, v31, v15
	v_div_scale_f32 v31, vcc_lo, 1.0, v13, 1.0
	v_mul_f32_e32 v32, v31, v15
	s_delay_alu instid0(VALU_DEP_1) | instskip(NEXT) | instid1(VALU_DEP_1)
	v_fma_f32 v33, -v14, v32, v31
	v_fmac_f32_e32 v32, v33, v15
	s_delay_alu instid0(VALU_DEP_1) | instskip(NEXT) | instid1(VALU_DEP_1)
	v_fma_f32 v14, -v14, v32, v31
	v_div_fmas_f32 v14, v14, v15, v32
	s_delay_alu instid0(VALU_DEP_1)
	v_div_fixup_f32 v13, v14, v13, 1.0
.LBB18_25:
	s_or_b32 exec_lo, exec_lo, s2
	s_waitcnt vmcnt(0)
	v_dual_add_f32 v8, v8, v28 :: v_dual_add_f32 v9, v9, v29
	s_mov_b32 s2, exec_lo
	s_delay_alu instid0(VALU_DEP_1) | instskip(NEXT) | instid1(VALU_DEP_1)
	v_max_f32_e32 v15, 0xff7fffff, v8
	v_dual_mov_b32 v31, v9 :: v_dual_mov_b32 v14, v15
	v_cmpx_ngt_f32_e32 v9, v15
	s_cbranch_execz .LBB18_29
; %bb.26:
	v_mov_b32_e32 v14, 0xff7fffff
	s_mov_b32 s3, exec_lo
	v_cmpx_lt_f32_e32 0xff7fffff, v9
; %bb.27:
	v_mov_b32_e32 v14, v9
; %bb.28:
	s_or_b32 exec_lo, exec_lo, s3
	v_mov_b32_e32 v31, v15
.LBB18_29:
	s_or_b32 exec_lo, exec_lo, s2
	s_delay_alu instid0(VALU_DEP_1) | instskip(SKIP_1) | instid1(VALU_DEP_1)
	v_dual_add_f32 v10, v10, v20 :: v_dual_mov_b32 v15, v31
	s_mov_b32 s2, exec_lo
	v_mov_b32_e32 v32, v10
	v_cmpx_ngt_f32_e32 v10, v31
	s_cbranch_execz .LBB18_33
; %bb.30:
	s_mov_b32 s3, exec_lo
	v_cmpx_gt_f32_e32 v10, v14
; %bb.31:
	v_mov_b32_e32 v14, v10
; %bb.32:
	s_or_b32 exec_lo, exec_lo, s3
	s_delay_alu instid0(VALU_DEP_1)
	v_dual_mov_b32 v15, v14 :: v_dual_mov_b32 v32, v31
.LBB18_33:
	s_or_b32 exec_lo, exec_lo, s2
	s_delay_alu instid0(VALU_DEP_1) | instskip(SKIP_1) | instid1(VALU_DEP_1)
	v_dual_add_f32 v14, v11, v22 :: v_dual_mov_b32 v11, v32
	s_mov_b32 s2, exec_lo
	v_mov_b32_e32 v31, v14
	v_cmpx_ngt_f32_e32 v14, v32
	s_cbranch_execz .LBB18_37
; %bb.34:
	s_mov_b32 s3, exec_lo
	v_cmpx_gt_f32_e32 v14, v15
; %bb.35:
	v_mov_b32_e32 v15, v14
; %bb.36:
	s_or_b32 exec_lo, exec_lo, s3
	s_delay_alu instid0(VALU_DEP_1)
	v_mov_b32_e32 v11, v15
	v_mov_b32_e32 v31, v32
.LBB18_37:
	s_or_b32 exec_lo, exec_lo, s2
	s_delay_alu instid0(VALU_DEP_1) | instskip(SKIP_1) | instid1(VALU_DEP_1)
	v_dual_add_f32 v15, v4, v21 :: v_dual_mov_b32 v4, v31
	s_mov_b32 s2, exec_lo
	v_mov_b32_e32 v32, v15
	v_cmpx_ngt_f32_e32 v15, v31
	s_cbranch_execz .LBB18_41
; %bb.38:
	s_mov_b32 s3, exec_lo
	v_cmpx_gt_f32_e32 v15, v11
; %bb.39:
	v_mov_b32_e32 v11, v15
; %bb.40:
	s_or_b32 exec_lo, exec_lo, s3
	s_delay_alu instid0(VALU_DEP_1)
	v_mov_b32_e32 v4, v11
	v_mov_b32_e32 v32, v31
.LBB18_41:
	s_or_b32 exec_lo, exec_lo, s2
	v_add_f32_e32 v31, v5, v23
	s_delay_alu instid0(VALU_DEP_2) | instskip(SKIP_1) | instid1(VALU_DEP_2)
	v_mov_b32_e32 v5, v32
	s_mov_b32 s2, exec_lo
	v_mov_b32_e32 v11, v31
	v_cmpx_ngt_f32_e32 v31, v32
	s_cbranch_execz .LBB18_45
; %bb.42:
	s_mov_b32 s3, exec_lo
	v_cmpx_gt_f32_e32 v31, v4
; %bb.43:
	v_mov_b32_e32 v4, v31
; %bb.44:
	s_or_b32 exec_lo, exec_lo, s3
	s_delay_alu instid0(VALU_DEP_1)
	v_mov_b32_e32 v5, v4
	v_mov_b32_e32 v11, v32
.LBB18_45:
	s_or_b32 exec_lo, exec_lo, s2
	v_add_f32_e32 v6, v6, v16
	s_delay_alu instid0(VALU_DEP_2) | instskip(SKIP_1) | instid1(VALU_DEP_2)
	v_mov_b32_e32 v4, v11
	;; [unrolled: 19-line block ×7, first 2 shown]
	s_mov_b32 s2, exec_lo
	v_mov_b32_e32 v3, v35
	v_cmpx_ngt_f32_e32 v35, v2
	s_cbranch_execz .LBB18_69
; %bb.66:
	s_mov_b32 s3, exec_lo
	v_cmpx_gt_f32_e32 v35, v0
; %bb.67:
	v_mov_b32_e32 v0, v35
; %bb.68:
	s_or_b32 exec_lo, exec_lo, s3
	s_delay_alu instid0(VALU_DEP_1)
	v_mov_b32_e32 v1, v0
	v_mov_b32_e32 v3, v2
.LBB18_69:
	s_or_b32 exec_lo, exec_lo, s2
	v_cmp_lt_i64_e64 s2, s[26:27], 8
	s_delay_alu instid0(VALU_DEP_1)
	s_and_b32 vcc_lo, exec_lo, s2
	s_cbranch_vccz .LBB18_72
; %bb.70:
	v_add_f32_e32 v0, v1, v3
	s_sub_u32 s4, 8, s26
	s_subb_u32 s5, 0, s27
	s_mov_b64 s[6:7], 0
.LBB18_71:                              ; =>This Inner Loop Header: Depth=1
	s_delay_alu instid0(VALU_DEP_1) | instskip(SKIP_1) | instid1(VALU_DEP_2)
	v_mov_b32_dpp v1, v0 quad_perm:[1,0,3,2] row_mask:0xf bank_mask:0xf
	v_mov_b32_dpp v2, v27 quad_perm:[1,0,3,2] row_mask:0xf bank_mask:0xf
	v_cmp_eq_f32_e32 vcc_lo, v0, v1
	s_delay_alu instid0(VALU_DEP_2) | instskip(SKIP_1) | instid1(VALU_DEP_2)
	v_cmp_lt_i32_e64 s2, v27, v2
	v_cmp_lt_f32_e64 s3, v0, v1
	s_and_b32 s2, s2, vcc_lo
	s_delay_alu instid0(VALU_DEP_1) | instid1(SALU_CYCLE_1)
	s_or_b32 vcc_lo, s3, s2
	v_dual_cndmask_b32 v1, v1, v0 :: v_dual_cndmask_b32 v2, v2, v27
	s_delay_alu instid0(VALU_DEP_1) | instskip(NEXT) | instid1(VALU_DEP_2)
	v_mov_b32_dpp v3, v1 quad_perm:[2,3,0,1] row_mask:0xf bank_mask:0xf
	v_mov_b32_dpp v4, v2 quad_perm:[2,3,0,1] row_mask:0xf bank_mask:0xf
	s_delay_alu instid0(VALU_DEP_2) | instskip(NEXT) | instid1(VALU_DEP_2)
	v_cmp_eq_f32_e32 vcc_lo, v1, v3
	v_cmp_lt_i32_e64 s2, v2, v4
	s_delay_alu instid0(VALU_DEP_1) | instskip(SKIP_2) | instid1(VALU_DEP_2)
	s_and_b32 vcc_lo, vcc_lo, s2
	v_cmp_lt_f32_e64 s2, v1, v3
	v_cndmask_b32_e32 v5, v3, v1, vcc_lo
	s_or_b32 vcc_lo, s2, vcc_lo
	s_add_u32 s6, s6, 1
	v_cndmask_b32_e32 v2, v4, v2, vcc_lo
	s_delay_alu instid0(VALU_DEP_2) | instskip(SKIP_1) | instid1(SALU_CYCLE_1)
	v_cndmask_b32_e64 v1, v5, v1, s2
	s_addc_u32 s7, s7, 0
	v_cmp_le_i64_e64 s2, s[4:5], s[6:7]
	s_delay_alu instid0(VALU_DEP_3) | instskip(NEXT) | instid1(VALU_DEP_3)
	v_mov_b32_dpp v3, v2 row_half_mirror row_mask:0xf bank_mask:0xf
	v_mov_b32_dpp v4, v1 row_half_mirror row_mask:0xf bank_mask:0xf
	s_delay_alu instid0(VALU_DEP_2) | instskip(NEXT) | instid1(VALU_DEP_2)
	v_min_i32_e32 v5, v2, v3
	v_cmp_eq_f32_e32 vcc_lo, v1, v4
	s_delay_alu instid0(VALU_DEP_2) | instskip(SKIP_1) | instid1(VALU_DEP_2)
	v_cndmask_b32_e32 v3, v3, v5, vcc_lo
	v_cmp_lt_f32_e32 vcc_lo, v1, v4
	v_cndmask_b32_e32 v1, v3, v2, vcc_lo
	s_delay_alu instid0(VALU_DEP_1) | instskip(NEXT) | instid1(VALU_DEP_1)
	v_mul_hi_i32 v1, 0x2aaaaaab, v1
	v_lshrrev_b32_e32 v2, 31, v1
	v_ashrrev_i32_e32 v1, 1, v1
	s_delay_alu instid0(VALU_DEP_1) | instskip(NEXT) | instid1(VALU_DEP_1)
	v_add_nc_u32_e32 v1, v1, v2
	v_cmp_eq_u32_e32 vcc_lo, v26, v1
	v_cndmask_b32_e64 v8, v8, 0x7f7fffff, vcc_lo
	v_cndmask_b32_e64 v0, v0, 0x7f7fffff, vcc_lo
	s_and_b32 vcc_lo, exec_lo, s2
	s_cbranch_vccz .LBB18_71
.LBB18_72:
	s_sub_u32 s14, s28, s30
	s_subb_u32 s15, s29, s31
	s_mov_b64 s[2:3], src_shared_base
	s_cmp_lg_u32 0, -1
	v_lshlrev_b32_e32 v4, 2, v30
	s_cselect_b32 s2, s3, 0
	s_cselect_b32 s3, 0, 0
	s_load_b32 s18, s[0:1], 0x48
	s_add_u32 s4, s3, 0xff
	s_addc_u32 s3, s2, 0
	s_and_b32 s2, s4, 0xffffff00
	s_delay_alu instid0(SALU_CYCLE_1) | instskip(SKIP_1) | instid1(VALU_DEP_1)
	v_mad_u64_u32 v[0:1], null, v4, s28, s[2:3]
	v_cmp_lt_i64_e64 s2, s[14:15], 1
	s_and_b32 vcc_lo, exec_lo, s2
	s_delay_alu instid0(VALU_DEP_2) | instskip(SKIP_1) | instid1(VALU_DEP_2)
	v_mad_u64_u32 v[2:3], null, v4, s29, v[1:2]
	v_cmp_eq_u32_e64 s2, 0, v26
	v_mov_b32_e32 v1, v2
	s_cbranch_vccnz .LBB18_83
; %bb.73:
	s_waitcnt lgkmcnt(0)
	v_mad_u64_u32 v[2:3], null, s18, v24, 0
	s_ashr_i32 s3, s18, 31
	v_add_nc_u32_e32 v38, 7, v27
	v_dual_mov_b32 v11, 0 :: v_dual_add_nc_u32 v36, 5, v27
	v_add_nc_u32_e32 v37, 6, v27
	v_add_nc_u32_e32 v39, 8, v27
	v_mad_u64_u32 v[4:5], null, s3, v24, v[3:4]
	v_add_nc_u32_e32 v30, 4, v27
	v_add_nc_u32_e32 v40, 9, v27
	;; [unrolled: 1-line block ×4, first 2 shown]
	s_mov_b64 s[16:17], 0
	v_mov_b32_e32 v3, v4
	v_dual_mov_b32 v5, v1 :: v_dual_mov_b32 v4, v0
	s_delay_alu instid0(VALU_DEP_2) | instskip(NEXT) | instid1(VALU_DEP_1)
	v_lshlrev_b64 v[2:3], 2, v[2:3]
	v_add_co_u32 v2, vcc_lo, s22, v2
	s_delay_alu instid0(VALU_DEP_2)
	v_add_co_ci_u32_e32 v3, vcc_lo, s23, v3, vcc_lo
	s_branch .LBB18_75
.LBB18_74:                              ;   in Loop: Header=BB18_75 Depth=1
	s_or_b32 exec_lo, exec_lo, s3
	s_add_u32 s16, s16, 1
	s_addc_u32 s17, s17, 0
	v_add_co_u32 v2, vcc_lo, v2, 4
	v_cmp_le_i64_e64 s3, s[14:15], s[16:17]
	v_add_co_ci_u32_e32 v3, vcc_lo, 0, v3, vcc_lo
	v_add_co_u32 v4, vcc_lo, v4, 4
	v_add_co_ci_u32_e32 v5, vcc_lo, 0, v5, vcc_lo
	s_delay_alu instid0(VALU_DEP_4)
	s_and_b32 vcc_lo, exec_lo, s3
	s_cbranch_vccnz .LBB18_84
.LBB18_75:                              ; =>This Inner Loop Header: Depth=1
	v_dual_mov_b32 v43, 0xff7fffff :: v_dual_mov_b32 v44, v27
	s_mov_b32 s3, exec_lo
	v_cmpx_neq_f32_e32 0x7f7fffff, v8
	s_cbranch_execz .LBB18_77
; %bb.76:                               ;   in Loop: Header=BB18_75 Depth=1
	v_cmp_gt_f32_e32 vcc_lo, v9, v8
	v_cndmask_b32_e32 v43, v8, v9, vcc_lo
	v_cndmask_b32_e64 v44, 0, 1, vcc_lo
	s_delay_alu instid0(VALU_DEP_2) | instskip(SKIP_1) | instid1(VALU_DEP_3)
	v_cmp_gt_f32_e32 vcc_lo, v10, v43
	v_cndmask_b32_e32 v43, v43, v10, vcc_lo
	v_cndmask_b32_e64 v44, v44, 2, vcc_lo
	s_delay_alu instid0(VALU_DEP_2) | instskip(SKIP_1) | instid1(VALU_DEP_3)
	v_cmp_gt_f32_e32 vcc_lo, v14, v43
	v_cndmask_b32_e32 v43, v43, v14, vcc_lo
	v_cndmask_b32_e64 v44, v44, 3, vcc_lo
	s_delay_alu instid0(VALU_DEP_2) | instskip(NEXT) | instid1(VALU_DEP_2)
	v_cmp_gt_f32_e32 vcc_lo, v15, v43
	v_or_b32_e32 v44, v44, v27
	s_delay_alu instid0(VALU_DEP_1) | instskip(NEXT) | instid1(VALU_DEP_1)
	v_dual_cndmask_b32 v43, v43, v15 :: v_dual_cndmask_b32 v44, v44, v30
	v_cmp_gt_f32_e32 vcc_lo, v31, v43
	s_delay_alu instid0(VALU_DEP_2) | instskip(NEXT) | instid1(VALU_DEP_1)
	v_dual_cndmask_b32 v43, v43, v31 :: v_dual_cndmask_b32 v44, v44, v36
	v_cmp_gt_f32_e32 vcc_lo, v6, v43
	s_delay_alu instid0(VALU_DEP_2) | instskip(NEXT) | instid1(VALU_DEP_1)
	v_dual_cndmask_b32 v43, v43, v6 :: v_dual_cndmask_b32 v44, v44, v37
	v_cmp_gt_f32_e32 vcc_lo, v7, v43
	s_delay_alu instid0(VALU_DEP_2) | instskip(NEXT) | instid1(VALU_DEP_1)
	v_dual_cndmask_b32 v43, v43, v7 :: v_dual_cndmask_b32 v44, v44, v38
	v_cmp_gt_f32_e32 vcc_lo, v32, v43
	s_delay_alu instid0(VALU_DEP_2) | instskip(NEXT) | instid1(VALU_DEP_1)
	v_dual_cndmask_b32 v43, v43, v32 :: v_dual_cndmask_b32 v44, v44, v39
	v_cmp_gt_f32_e32 vcc_lo, v33, v43
	s_delay_alu instid0(VALU_DEP_2) | instskip(NEXT) | instid1(VALU_DEP_1)
	v_dual_cndmask_b32 v43, v43, v33 :: v_dual_cndmask_b32 v44, v44, v40
	v_cmp_gt_f32_e32 vcc_lo, v34, v43
	s_delay_alu instid0(VALU_DEP_2) | instskip(NEXT) | instid1(VALU_DEP_1)
	v_dual_cndmask_b32 v43, v43, v34 :: v_dual_cndmask_b32 v44, v44, v41
	v_cmp_gt_f32_e32 vcc_lo, v35, v43
	s_delay_alu instid0(VALU_DEP_2)
	v_dual_cndmask_b32 v44, v44, v42 :: v_dual_cndmask_b32 v43, v43, v35
.LBB18_77:                              ;   in Loop: Header=BB18_75 Depth=1
	s_or_b32 exec_lo, exec_lo, s3
	s_delay_alu instid0(VALU_DEP_1) | instskip(NEXT) | instid1(VALU_DEP_2)
	v_mov_b32_dpp v45, v43 quad_perm:[1,0,3,2] row_mask:0xf bank_mask:0xf
	v_mov_b32_dpp v46, v44 quad_perm:[1,0,3,2] row_mask:0xf bank_mask:0xf
	s_mov_b32 s19, exec_lo
	s_delay_alu instid0(VALU_DEP_2) | instskip(NEXT) | instid1(VALU_DEP_2)
	v_cmp_eq_f32_e32 vcc_lo, v43, v45
	v_cmp_lt_i32_e64 s3, v44, v46
	v_cmp_gt_f32_e64 s4, v43, v45
	s_delay_alu instid0(VALU_DEP_2)
	s_and_b32 s3, vcc_lo, s3
	s_delay_alu instid0(VALU_DEP_1) | instid1(SALU_CYCLE_1)
	s_or_b32 vcc_lo, s4, s3
	v_dual_cndmask_b32 v43, v45, v43 :: v_dual_cndmask_b32 v44, v46, v44
	s_delay_alu instid0(VALU_DEP_1) | instskip(NEXT) | instid1(VALU_DEP_2)
	v_mov_b32_dpp v45, v43 quad_perm:[2,3,0,1] row_mask:0xf bank_mask:0xf
	v_mov_b32_dpp v46, v44 quad_perm:[2,3,0,1] row_mask:0xf bank_mask:0xf
	s_delay_alu instid0(VALU_DEP_2) | instskip(NEXT) | instid1(VALU_DEP_2)
	v_cmp_eq_f32_e32 vcc_lo, v43, v45
	v_cmp_lt_i32_e64 s3, v44, v46
	s_delay_alu instid0(VALU_DEP_1) | instskip(SKIP_2) | instid1(VALU_DEP_2)
	s_and_b32 vcc_lo, vcc_lo, s3
	v_cmp_gt_f32_e64 s3, v43, v45
	v_cndmask_b32_e32 v47, v45, v43, vcc_lo
	s_or_b32 vcc_lo, s3, vcc_lo
	v_cndmask_b32_e32 v44, v46, v44, vcc_lo
	s_delay_alu instid0(VALU_DEP_2) | instskip(NEXT) | instid1(VALU_DEP_2)
	v_cndmask_b32_e64 v43, v47, v43, s3
	v_mov_b32_dpp v45, v44 row_half_mirror row_mask:0xf bank_mask:0xf
	s_delay_alu instid0(VALU_DEP_2) | instskip(NEXT) | instid1(VALU_DEP_2)
	v_mov_b32_dpp v46, v43 row_half_mirror row_mask:0xf bank_mask:0xf
	v_min_i32_e32 v47, v44, v45
	s_delay_alu instid0(VALU_DEP_2) | instskip(NEXT) | instid1(VALU_DEP_2)
	v_cmp_eq_f32_e32 vcc_lo, v43, v46
	v_cndmask_b32_e32 v45, v45, v47, vcc_lo
	v_cmp_gt_f32_e32 vcc_lo, v43, v46
	s_delay_alu instid0(VALU_DEP_2) | instskip(NEXT) | instid1(VALU_DEP_1)
	v_cndmask_b32_e32 v43, v45, v44, vcc_lo
	v_mul_hi_i32 v44, 0x2aaaaaab, v43
	s_delay_alu instid0(VALU_DEP_1) | instskip(SKIP_1) | instid1(VALU_DEP_1)
	v_lshrrev_b32_e32 v45, 31, v44
	v_ashrrev_i32_e32 v44, 1, v44
	v_add_nc_u32_e32 v44, v44, v45
	s_delay_alu instid0(VALU_DEP_1)
	v_cmpx_eq_u32_e64 v26, v44
	s_cbranch_execz .LBB18_81
; %bb.78:                               ;   in Loop: Header=BB18_75 Depth=1
	v_sub_nc_u32_e32 v44, v43, v27
	s_mov_b32 s24, exec_lo
	s_delay_alu instid0(VALU_DEP_1)
	v_cmp_eq_u32_e32 vcc_lo, 1, v44
	v_cmp_eq_u32_e64 s3, 2, v44
	v_cmp_eq_u32_e64 s4, 3, v44
	;; [unrolled: 1-line block ×10, first 2 shown]
	v_cmpx_gt_u32_e32 12, v44
	s_cbranch_execz .LBB18_80
; %bb.79:                               ;   in Loop: Header=BB18_75 Depth=1
	v_cndmask_b32_e32 v45, v28, v29, vcc_lo
	s_delay_alu instid0(VALU_DEP_1) | instskip(NEXT) | instid1(VALU_DEP_1)
	v_cndmask_b32_e64 v45, v45, v20, s3
	v_cndmask_b32_e64 v45, v45, v22, s4
	s_delay_alu instid0(VALU_DEP_1) | instskip(NEXT) | instid1(VALU_DEP_1)
	v_cndmask_b32_e64 v45, v45, v21, s5
	v_cndmask_b32_e64 v45, v45, v23, s6
	;; [unrolled: 3-line block ×5, first 2 shown]
	flat_store_b32 v[4:5], v45
.LBB18_80:                              ;   in Loop: Header=BB18_75 Depth=1
	s_or_b32 exec_lo, exec_lo, s24
	v_cmp_ne_u32_e64 s13, 0, v44
	v_cndmask_b32_e64 v9, v9, 0xff7fffff, vcc_lo
	v_cndmask_b32_e64 v10, v10, 0xff7fffff, s3
	v_cndmask_b32_e64 v14, v14, 0xff7fffff, s4
	;; [unrolled: 1-line block ×11, first 2 shown]
	global_store_b32 v[2:3], v43, off
.LBB18_81:                              ;   in Loop: Header=BB18_75 Depth=1
	s_or_b32 exec_lo, exec_lo, s19
	s_waitcnt lgkmcnt(0)
	s_waitcnt_vscnt null, 0x0
	s_barrier
	buffer_gl0_inv
	s_and_saveexec_b32 s3, s2
	s_cbranch_execz .LBB18_74
; %bb.82:                               ;   in Loop: Header=BB18_75 Depth=1
	flat_load_b32 v43, v[4:5]
	s_waitcnt vmcnt(0) lgkmcnt(0)
	v_add_f32_e32 v11, v11, v43
	s_branch .LBB18_74
.LBB18_83:
	v_mov_b32_e32 v11, 0
.LBB18_84:
	v_cmp_gt_i64_e64 s3, s[30:31], 0
	v_cmp_eq_u32_e64 s2, 0, v26
	s_delay_alu instid0(VALU_DEP_1) | instskip(NEXT) | instid1(SALU_CYCLE_1)
	s_and_b32 s4, s2, s3
	s_and_saveexec_b32 s3, s4
	s_cbranch_execz .LBB18_90
; %bb.85:
	v_dual_mov_b32 v2, v24 :: v_dual_mov_b32 v3, v25
	s_mov_b32 s4, exec_lo
	v_cmpx_le_u64_e64 s[30:31], v[24:25]
	s_cbranch_execz .LBB18_87
; %bb.86:
	v_cvt_f32_u32_e32 v2, s30
	s_sub_i32 s5, 0, s30
	s_delay_alu instid0(VALU_DEP_1) | instskip(SKIP_2) | instid1(VALU_DEP_1)
	v_rcp_iflag_f32_e32 v2, v2
	s_waitcnt_depctr 0xfff
	v_mul_f32_e32 v2, 0x4f7ffffe, v2
	v_cvt_u32_f32_e32 v2, v2
	s_delay_alu instid0(VALU_DEP_1) | instskip(NEXT) | instid1(VALU_DEP_1)
	v_mul_lo_u32 v3, s5, v2
	v_mul_hi_u32 v3, v2, v3
	s_delay_alu instid0(VALU_DEP_1) | instskip(NEXT) | instid1(VALU_DEP_1)
	v_add_nc_u32_e32 v2, v2, v3
	v_mul_hi_u32 v2, v24, v2
	s_delay_alu instid0(VALU_DEP_1) | instskip(NEXT) | instid1(VALU_DEP_1)
	v_mul_lo_u32 v2, v2, s30
	v_sub_nc_u32_e32 v2, v24, v2
	s_delay_alu instid0(VALU_DEP_1) | instskip(SKIP_1) | instid1(VALU_DEP_2)
	v_subrev_nc_u32_e32 v3, s30, v2
	v_cmp_le_u32_e32 vcc_lo, s30, v2
	v_cndmask_b32_e32 v2, v2, v3, vcc_lo
	s_delay_alu instid0(VALU_DEP_1) | instskip(SKIP_1) | instid1(VALU_DEP_2)
	v_subrev_nc_u32_e32 v3, s30, v2
	v_cmp_le_u32_e32 vcc_lo, s30, v2
	v_dual_cndmask_b32 v2, v2, v3 :: v_dual_mov_b32 v3, 0
.LBB18_87:
	s_or_b32 exec_lo, exec_lo, s4
	v_cvt_f64_f32_e32 v[4:5], v11
	s_load_b64 s[0:1], s[0:1], 0x40
	s_waitcnt lgkmcnt(0)
	s_delay_alu instid0(VALU_DEP_1) | instskip(SKIP_1) | instid1(VALU_DEP_2)
	v_div_scale_f64 v[6:7], null, s[0:1], s[0:1], v[4:5]
	v_div_scale_f64 v[14:15], vcc_lo, v[4:5], s[0:1], v[4:5]
	v_rcp_f64_e32 v[8:9], v[6:7]
	s_waitcnt_depctr 0xfff
	v_fma_f64 v[12:13], -v[6:7], v[8:9], 1.0
	s_delay_alu instid0(VALU_DEP_1) | instskip(NEXT) | instid1(VALU_DEP_1)
	v_fma_f64 v[8:9], v[8:9], v[12:13], v[8:9]
	v_fma_f64 v[12:13], -v[6:7], v[8:9], 1.0
	s_delay_alu instid0(VALU_DEP_1) | instskip(NEXT) | instid1(VALU_DEP_1)
	v_fma_f64 v[8:9], v[8:9], v[12:13], v[8:9]
	v_mul_f64 v[12:13], v[14:15], v[8:9]
	s_delay_alu instid0(VALU_DEP_1) | instskip(NEXT) | instid1(VALU_DEP_1)
	v_fma_f64 v[6:7], -v[6:7], v[12:13], v[14:15]
	v_div_fmas_f64 v[6:7], v[6:7], v[8:9], v[12:13]
	v_add_nc_u32_e32 v12, 0x60, v2
	s_delay_alu instid0(VALU_DEP_2) | instskip(SKIP_2) | instid1(VALU_DEP_2)
	v_div_fixup_f64 v[4:5], v[6:7], s[0:1], v[4:5]
	v_mad_u64_u32 v[6:7], null, s18, v24, s[14:15]
	s_ashr_i32 s0, s18, 31
	v_cvt_f32_f64_e32 v8, v[4:5]
	s_delay_alu instid0(VALU_DEP_2) | instskip(NEXT) | instid1(VALU_DEP_1)
	v_mov_b32_e32 v4, v7
	v_mad_u64_u32 v[9:10], null, s0, v24, v[4:5]
	v_cmp_lt_u64_e64 s0, s[30:31], 2
	s_delay_alu instid0(VALU_DEP_2) | instskip(NEXT) | instid1(VALU_DEP_1)
	v_mov_b32_e32 v7, v9
	v_lshlrev_b64 v[4:5], 2, v[6:7]
	s_delay_alu instid0(VALU_DEP_1) | instskip(NEXT) | instid1(VALU_DEP_2)
	v_add_co_u32 v6, vcc_lo, s22, v4
	v_add_co_ci_u32_e32 v7, vcc_lo, s23, v5, vcc_lo
	v_add_co_u32 v9, vcc_lo, s20, v4
	v_add_co_ci_u32_e32 v10, vcc_lo, s21, v5, vcc_lo
	s_and_b32 vcc_lo, exec_lo, s0
	global_store_b32 v[6:7], v12, off
	global_store_b32 v[9:10], v8, off
	s_cbranch_vccnz .LBB18_90
; %bb.88:
	v_add_co_u32 v6, vcc_lo, v4, 4
	v_add_co_ci_u32_e32 v7, vcc_lo, 0, v5, vcc_lo
	s_mov_b64 s[0:1], 1
	s_delay_alu instid0(VALU_DEP_2) | instskip(NEXT) | instid1(VALU_DEP_2)
	v_add_co_u32 v4, vcc_lo, s20, v6
	v_add_co_ci_u32_e32 v5, vcc_lo, s21, v7, vcc_lo
	v_add_co_u32 v6, vcc_lo, s22, v6
	v_add_co_ci_u32_e32 v7, vcc_lo, s23, v7, vcc_lo
	.p2align	6
.LBB18_89:                              ; =>This Inner Loop Header: Depth=1
	s_delay_alu instid0(VALU_DEP_2)
	v_add_co_u32 v9, vcc_lo, v2, 1
	v_add_co_ci_u32_e32 v10, vcc_lo, 0, v3, vcc_lo
	v_add_nc_u32_e32 v2, 0x61, v2
	s_add_u32 s0, s0, 1
	global_store_b32 v[4:5], v8, off
	v_add_co_u32 v4, vcc_lo, v4, 4
	s_addc_u32 s1, s1, 0
	v_add_co_ci_u32_e32 v5, vcc_lo, 0, v5, vcc_lo
	v_cmp_lt_u64_e64 s4, s[0:1], s[30:31]
	global_store_b32 v[6:7], v2, off
	v_add_co_u32 v6, vcc_lo, v6, 4
	v_dual_mov_b32 v2, v9 :: v_dual_mov_b32 v3, v10
	v_add_co_ci_u32_e32 v7, vcc_lo, 0, v7, vcc_lo
	s_and_b32 vcc_lo, exec_lo, s4
	s_cbranch_vccnz .LBB18_89
.LBB18_90:
	s_or_b32 exec_lo, exec_lo, s3
	v_cmp_gt_i64_e64 s3, s[28:29], 0
	s_mov_b64 s[0:1], 0
	s_waitcnt lgkmcnt(0)
	s_waitcnt_vscnt null, 0x0
	s_barrier
	buffer_gl0_inv
	s_and_b32 s2, s2, s3
	s_delay_alu instid0(SALU_CYCLE_1)
	s_and_b32 exec_lo, exec_lo, s2
	s_cbranch_execz .LBB18_97
; %bb.91:
	v_mad_u64_u32 v[2:3], null, s18, v24, 0
	s_ashr_i32 s2, s18, 31
	s_delay_alu instid0(VALU_DEP_1) | instid1(SALU_CYCLE_1)
	v_mad_u64_u32 v[4:5], null, s2, v24, v[3:4]
	v_cmp_lt_u64_e64 s2, s[28:29], 8
	s_delay_alu instid0(VALU_DEP_2) | instskip(NEXT) | instid1(VALU_DEP_1)
	v_mov_b32_e32 v3, v4
	v_lshlrev_b64 v[2:3], 2, v[2:3]
	s_delay_alu instid0(VALU_DEP_1) | instskip(NEXT) | instid1(VALU_DEP_2)
	v_add_co_u32 v2, vcc_lo, s20, v2
	v_add_co_ci_u32_e32 v3, vcc_lo, s21, v3, vcc_lo
	s_and_b32 vcc_lo, exec_lo, s2
	s_cbranch_vccnz .LBB18_94
; %bb.92:
	s_and_b32 s1, s29, 0x7fffffff
	s_and_b32 s0, s28, -8
	s_mov_b64 s[2:3], 0
	s_mov_b64 s[4:5], s[0:1]
.LBB18_93:                              ; =>This Inner Loop Header: Depth=1
	v_add_co_u32 v4, vcc_lo, v0, s2
	v_add_co_ci_u32_e32 v5, vcc_lo, s3, v1, vcc_lo
	flat_load_b32 v8, v[4:5]
	s_waitcnt vmcnt(0) lgkmcnt(0)
	v_div_scale_f32 v6, null, v11, v11, v8
	v_div_scale_f32 v10, vcc_lo, v8, v11, v8
	s_delay_alu instid0(VALU_DEP_2) | instskip(SKIP_2) | instid1(VALU_DEP_1)
	v_rcp_f32_e32 v7, v6
	s_waitcnt_depctr 0xfff
	v_fma_f32 v9, -v6, v7, 1.0
	v_fmac_f32_e32 v7, v9, v7
	s_delay_alu instid0(VALU_DEP_1) | instskip(NEXT) | instid1(VALU_DEP_1)
	v_mul_f32_e32 v9, v10, v7
	v_fma_f32 v12, -v6, v9, v10
	s_delay_alu instid0(VALU_DEP_1) | instskip(NEXT) | instid1(VALU_DEP_1)
	v_fmac_f32_e32 v9, v12, v7
	v_fma_f32 v6, -v6, v9, v10
	s_delay_alu instid0(VALU_DEP_1) | instskip(SKIP_2) | instid1(VALU_DEP_3)
	v_div_fmas_f32 v9, v6, v7, v9
	v_add_co_u32 v6, vcc_lo, v2, s2
	v_add_co_ci_u32_e32 v7, vcc_lo, s3, v3, vcc_lo
	v_div_fixup_f32 v8, v9, v11, v8
	s_add_u32 s2, s2, 32
	s_addc_u32 s3, s3, 0
	s_add_u32 s4, s4, -8
	s_addc_u32 s5, s5, -1
	global_store_b32 v[6:7], v8, off
	flat_load_b32 v8, v[4:5] offset:4
	s_cmp_lg_u64 s[4:5], 0
	s_waitcnt vmcnt(0) lgkmcnt(0)
	v_div_scale_f32 v9, null, v11, v11, v8
	v_div_scale_f32 v13, vcc_lo, v8, v11, v8
	s_delay_alu instid0(VALU_DEP_2) | instskip(SKIP_2) | instid1(VALU_DEP_1)
	v_rcp_f32_e32 v10, v9
	s_waitcnt_depctr 0xfff
	v_fma_f32 v12, -v9, v10, 1.0
	v_fmac_f32_e32 v10, v12, v10
	s_delay_alu instid0(VALU_DEP_1) | instskip(NEXT) | instid1(VALU_DEP_1)
	v_mul_f32_e32 v12, v13, v10
	v_fma_f32 v14, -v9, v12, v13
	s_delay_alu instid0(VALU_DEP_1) | instskip(NEXT) | instid1(VALU_DEP_1)
	v_fmac_f32_e32 v12, v14, v10
	v_fma_f32 v9, -v9, v12, v13
	s_delay_alu instid0(VALU_DEP_1) | instskip(NEXT) | instid1(VALU_DEP_1)
	v_div_fmas_f32 v9, v9, v10, v12
	v_div_fixup_f32 v8, v9, v11, v8
	global_store_b32 v[6:7], v8, off offset:4
	flat_load_b32 v8, v[4:5] offset:8
	s_waitcnt vmcnt(0) lgkmcnt(0)
	v_div_scale_f32 v9, null, v11, v11, v8
	v_div_scale_f32 v13, vcc_lo, v8, v11, v8
	s_delay_alu instid0(VALU_DEP_2) | instskip(SKIP_2) | instid1(VALU_DEP_1)
	v_rcp_f32_e32 v10, v9
	s_waitcnt_depctr 0xfff
	v_fma_f32 v12, -v9, v10, 1.0
	v_fmac_f32_e32 v10, v12, v10
	s_delay_alu instid0(VALU_DEP_1) | instskip(NEXT) | instid1(VALU_DEP_1)
	v_mul_f32_e32 v12, v13, v10
	v_fma_f32 v14, -v9, v12, v13
	s_delay_alu instid0(VALU_DEP_1) | instskip(NEXT) | instid1(VALU_DEP_1)
	v_fmac_f32_e32 v12, v14, v10
	v_fma_f32 v9, -v9, v12, v13
	s_delay_alu instid0(VALU_DEP_1) | instskip(NEXT) | instid1(VALU_DEP_1)
	v_div_fmas_f32 v9, v9, v10, v12
	v_div_fixup_f32 v8, v9, v11, v8
	global_store_b32 v[6:7], v8, off offset:8
	flat_load_b32 v8, v[4:5] offset:12
	;; [unrolled: 19-line block ×6, first 2 shown]
	s_waitcnt vmcnt(0) lgkmcnt(0)
	v_div_scale_f32 v5, null, v11, v11, v4
	v_div_scale_f32 v10, vcc_lo, v4, v11, v4
	s_delay_alu instid0(VALU_DEP_2) | instskip(SKIP_2) | instid1(VALU_DEP_1)
	v_rcp_f32_e32 v8, v5
	s_waitcnt_depctr 0xfff
	v_fma_f32 v9, -v5, v8, 1.0
	v_fmac_f32_e32 v8, v9, v8
	s_delay_alu instid0(VALU_DEP_1) | instskip(NEXT) | instid1(VALU_DEP_1)
	v_mul_f32_e32 v9, v10, v8
	v_fma_f32 v12, -v5, v9, v10
	s_delay_alu instid0(VALU_DEP_1) | instskip(NEXT) | instid1(VALU_DEP_1)
	v_fmac_f32_e32 v9, v12, v8
	v_fma_f32 v5, -v5, v9, v10
	s_delay_alu instid0(VALU_DEP_1) | instskip(NEXT) | instid1(VALU_DEP_1)
	v_div_fmas_f32 v5, v5, v8, v9
	v_div_fixup_f32 v4, v5, v11, v4
	global_store_b32 v[6:7], v4, off offset:28
	s_cbranch_scc1 .LBB18_93
.LBB18_94:
	s_and_b32 s2, s28, 7
	s_mov_b32 s3, 0
	s_delay_alu instid0(SALU_CYCLE_1)
	s_cmp_eq_u64 s[2:3], 0
	s_cbranch_scc1 .LBB18_97
; %bb.95:
	s_mov_b64 s[4:5], s[2:3]
	s_set_inst_prefetch_distance 0x1
	.p2align	6
.LBB18_96:                              ; =>This Inner Loop Header: Depth=1
	s_lshl_b64 s[6:7], s[0:1], 2
	s_add_i32 s2, s0, 1
	v_add_co_u32 v4, vcc_lo, v0, s6
	v_add_co_ci_u32_e32 v5, vcc_lo, s7, v1, vcc_lo
	s_add_u32 s4, s4, -1
	s_addc_u32 s5, s5, -1
	s_mov_b64 s[0:1], s[2:3]
	flat_load_b32 v6, v[4:5]
	s_cmp_lg_u64 s[4:5], 0
	s_waitcnt vmcnt(0) lgkmcnt(0)
	v_div_scale_f32 v4, null, v11, v11, v6
	v_div_scale_f32 v8, vcc_lo, v6, v11, v6
	s_delay_alu instid0(VALU_DEP_2) | instskip(SKIP_2) | instid1(VALU_DEP_1)
	v_rcp_f32_e32 v5, v4
	s_waitcnt_depctr 0xfff
	v_fma_f32 v7, -v4, v5, 1.0
	v_fmac_f32_e32 v5, v7, v5
	s_delay_alu instid0(VALU_DEP_1) | instskip(NEXT) | instid1(VALU_DEP_1)
	v_mul_f32_e32 v7, v8, v5
	v_fma_f32 v9, -v4, v7, v8
	s_delay_alu instid0(VALU_DEP_1) | instskip(NEXT) | instid1(VALU_DEP_1)
	v_fmac_f32_e32 v7, v9, v5
	v_fma_f32 v4, -v4, v7, v8
	s_delay_alu instid0(VALU_DEP_1) | instskip(SKIP_2) | instid1(VALU_DEP_3)
	v_div_fmas_f32 v7, v4, v5, v7
	v_add_co_u32 v4, vcc_lo, v2, s6
	v_add_co_ci_u32_e32 v5, vcc_lo, s7, v3, vcc_lo
	v_div_fixup_f32 v6, v7, v11, v6
	global_store_b32 v[4:5], v6, off
	s_cbranch_scc1 .LBB18_96
.LBB18_97:
	s_set_inst_prefetch_distance 0x2
	s_nop 0
	s_sendmsg sendmsg(MSG_DEALLOC_VGPRS)
	s_endpgm
	.section	.rodata,"a",@progbits
	.p2align	6, 0x0
	.amdhsa_kernel _Z21moe_fused_gate_kernelIfLi12ELi96ELi8ELi1EEvPvS0_PfPilllldi
		.amdhsa_group_segment_fixed_size 0
		.amdhsa_private_segment_fixed_size 0
		.amdhsa_kernarg_size 76
		.amdhsa_user_sgpr_count 15
		.amdhsa_user_sgpr_dispatch_ptr 0
		.amdhsa_user_sgpr_queue_ptr 0
		.amdhsa_user_sgpr_kernarg_segment_ptr 1
		.amdhsa_user_sgpr_dispatch_id 0
		.amdhsa_user_sgpr_private_segment_size 0
		.amdhsa_wavefront_size32 1
		.amdhsa_uses_dynamic_stack 0
		.amdhsa_enable_private_segment 0
		.amdhsa_system_sgpr_workgroup_id_x 1
		.amdhsa_system_sgpr_workgroup_id_y 0
		.amdhsa_system_sgpr_workgroup_id_z 0
		.amdhsa_system_sgpr_workgroup_info 0
		.amdhsa_system_vgpr_workitem_id 1
		.amdhsa_next_free_vgpr 48
		.amdhsa_next_free_sgpr 32
		.amdhsa_reserve_vcc 1
		.amdhsa_float_round_mode_32 0
		.amdhsa_float_round_mode_16_64 0
		.amdhsa_float_denorm_mode_32 3
		.amdhsa_float_denorm_mode_16_64 3
		.amdhsa_dx10_clamp 1
		.amdhsa_ieee_mode 1
		.amdhsa_fp16_overflow 0
		.amdhsa_workgroup_processor_mode 1
		.amdhsa_memory_ordered 1
		.amdhsa_forward_progress 0
		.amdhsa_shared_vgpr_count 0
		.amdhsa_exception_fp_ieee_invalid_op 0
		.amdhsa_exception_fp_denorm_src 0
		.amdhsa_exception_fp_ieee_div_zero 0
		.amdhsa_exception_fp_ieee_overflow 0
		.amdhsa_exception_fp_ieee_underflow 0
		.amdhsa_exception_fp_ieee_inexact 0
		.amdhsa_exception_int_div_zero 0
	.end_amdhsa_kernel
	.section	.text._Z21moe_fused_gate_kernelIfLi12ELi96ELi8ELi1EEvPvS0_PfPilllldi,"axG",@progbits,_Z21moe_fused_gate_kernelIfLi12ELi96ELi8ELi1EEvPvS0_PfPilllldi,comdat
.Lfunc_end18:
	.size	_Z21moe_fused_gate_kernelIfLi12ELi96ELi8ELi1EEvPvS0_PfPilllldi, .Lfunc_end18-_Z21moe_fused_gate_kernelIfLi12ELi96ELi8ELi1EEvPvS0_PfPilllldi
                                        ; -- End function
	.section	.AMDGPU.csdata,"",@progbits
; Kernel info:
; codeLenInByte = 6892
; NumSgprs: 34
; NumVgprs: 48
; ScratchSize: 0
; MemoryBound: 1
; FloatMode: 240
; IeeeMode: 1
; LDSByteSize: 0 bytes/workgroup (compile time only)
; SGPRBlocks: 4
; VGPRBlocks: 5
; NumSGPRsForWavesPerEU: 34
; NumVGPRsForWavesPerEU: 48
; Occupancy: 16
; WaveLimiterHint : 0
; COMPUTE_PGM_RSRC2:SCRATCH_EN: 0
; COMPUTE_PGM_RSRC2:USER_SGPR: 15
; COMPUTE_PGM_RSRC2:TRAP_HANDLER: 0
; COMPUTE_PGM_RSRC2:TGID_X_EN: 1
; COMPUTE_PGM_RSRC2:TGID_Y_EN: 0
; COMPUTE_PGM_RSRC2:TGID_Z_EN: 0
; COMPUTE_PGM_RSRC2:TIDIG_COMP_CNT: 1
	.section	.text._Z29moe_fused_gate_kernel_dynamicItEvPvS0_PfPilllllldi,"axG",@progbits,_Z29moe_fused_gate_kernel_dynamicItEvPvS0_PfPilllllldi,comdat
	.protected	_Z29moe_fused_gate_kernel_dynamicItEvPvS0_PfPilllllldi ; -- Begin function _Z29moe_fused_gate_kernel_dynamicItEvPvS0_PfPilllllldi
	.globl	_Z29moe_fused_gate_kernel_dynamicItEvPvS0_PfPilllllldi
	.p2align	8
	.type	_Z29moe_fused_gate_kernel_dynamicItEvPvS0_PfPilllllldi,@function
_Z29moe_fused_gate_kernel_dynamicItEvPvS0_PfPilllllldi: ; @_Z29moe_fused_gate_kernel_dynamicItEvPvS0_PfPilllllldi
; %bb.0:
	s_load_b512 s[16:31], s[0:1], 0x0
	s_waitcnt lgkmcnt(0)
	s_or_b64 s[2:3], s[26:27], s[28:29]
	s_mov_b32 s2, 0
	s_delay_alu instid0(SALU_CYCLE_1)
	s_cmp_lg_u64 s[2:3], 0
	s_cbranch_scc0 .LBB19_21
; %bb.1:
	s_ashr_i32 s4, s29, 31
	s_delay_alu instid0(SALU_CYCLE_1) | instskip(SKIP_2) | instid1(SALU_CYCLE_1)
	s_add_u32 s6, s28, s4
	s_mov_b32 s5, s4
	s_addc_u32 s7, s29, s4
	s_xor_b64 s[6:7], s[6:7], s[4:5]
	s_delay_alu instid0(SALU_CYCLE_1) | instskip(SKIP_3) | instid1(VALU_DEP_1)
	v_cvt_f32_u32_e32 v1, s6
	v_cvt_f32_u32_e32 v2, s7
	s_sub_u32 s9, 0, s6
	s_subb_u32 s10, 0, s7
	v_fmamk_f32 v1, v2, 0x4f800000, v1
	s_delay_alu instid0(VALU_DEP_1) | instskip(SKIP_2) | instid1(VALU_DEP_1)
	v_rcp_f32_e32 v1, v1
	s_waitcnt_depctr 0xfff
	v_mul_f32_e32 v1, 0x5f7ffffc, v1
	v_mul_f32_e32 v2, 0x2f800000, v1
	s_delay_alu instid0(VALU_DEP_1) | instskip(NEXT) | instid1(VALU_DEP_1)
	v_trunc_f32_e32 v2, v2
	v_fmamk_f32 v1, v2, 0xcf800000, v1
	v_cvt_u32_f32_e32 v2, v2
	s_delay_alu instid0(VALU_DEP_2) | instskip(NEXT) | instid1(VALU_DEP_2)
	v_cvt_u32_f32_e32 v1, v1
	v_readfirstlane_b32 s3, v2
	s_delay_alu instid0(VALU_DEP_2) | instskip(NEXT) | instid1(VALU_DEP_2)
	v_readfirstlane_b32 s8, v1
	s_mul_i32 s11, s9, s3
	s_delay_alu instid0(VALU_DEP_1)
	s_mul_hi_u32 s13, s9, s8
	s_mul_i32 s12, s10, s8
	s_add_i32 s11, s13, s11
	s_mul_i32 s14, s9, s8
	s_add_i32 s11, s11, s12
	s_mul_hi_u32 s13, s8, s14
	s_mul_hi_u32 s33, s3, s14
	s_mul_i32 s12, s3, s14
	s_mul_hi_u32 s14, s8, s11
	s_mul_i32 s8, s8, s11
	s_mul_hi_u32 s34, s3, s11
	s_add_u32 s8, s13, s8
	s_addc_u32 s13, 0, s14
	s_add_u32 s8, s8, s12
	s_mul_i32 s11, s3, s11
	s_addc_u32 s8, s13, s33
	s_addc_u32 s12, s34, 0
	s_add_u32 s8, s8, s11
	s_addc_u32 s11, 0, s12
	v_add_co_u32 v1, s8, v1, s8
	s_delay_alu instid0(VALU_DEP_1) | instskip(SKIP_1) | instid1(VALU_DEP_1)
	s_cmp_lg_u32 s8, 0
	s_addc_u32 s3, s3, s11
	v_readfirstlane_b32 s8, v1
	s_mul_i32 s11, s9, s3
	s_delay_alu instid0(VALU_DEP_1)
	s_mul_hi_u32 s12, s9, s8
	s_mul_i32 s10, s10, s8
	s_add_i32 s11, s12, s11
	s_mul_i32 s9, s9, s8
	s_add_i32 s11, s11, s10
	s_mul_hi_u32 s12, s3, s9
	s_mul_i32 s13, s3, s9
	s_mul_hi_u32 s9, s8, s9
	s_mul_hi_u32 s14, s8, s11
	s_mul_i32 s8, s8, s11
	s_mul_hi_u32 s10, s3, s11
	s_add_u32 s8, s9, s8
	s_addc_u32 s9, 0, s14
	s_add_u32 s8, s8, s13
	s_mul_i32 s11, s3, s11
	s_addc_u32 s8, s9, s12
	s_addc_u32 s9, s10, 0
	s_add_u32 s8, s8, s11
	s_addc_u32 s9, 0, s9
	v_add_co_u32 v1, s8, v1, s8
	s_delay_alu instid0(VALU_DEP_1) | instskip(SKIP_2) | instid1(VALU_DEP_1)
	s_cmp_lg_u32 s8, 0
	s_addc_u32 s3, s3, s9
	s_ashr_i32 s8, s27, 31
	v_readfirstlane_b32 s12, v1
	s_add_u32 s10, s26, s8
	s_mov_b32 s9, s8
	s_addc_u32 s11, s27, s8
	s_delay_alu instid0(SALU_CYCLE_1) | instskip(NEXT) | instid1(SALU_CYCLE_1)
	s_xor_b64 s[10:11], s[10:11], s[8:9]
	s_mul_i32 s14, s10, s3
	s_mul_hi_u32 s33, s10, s12
	s_mul_hi_u32 s13, s10, s3
	s_mul_hi_u32 s35, s11, s12
	s_mul_i32 s12, s11, s12
	s_add_u32 s14, s33, s14
	s_addc_u32 s13, 0, s13
	s_mul_hi_u32 s34, s11, s3
	s_add_u32 s12, s14, s12
	s_mul_i32 s3, s11, s3
	s_addc_u32 s12, s13, s35
	s_addc_u32 s13, s34, 0
	s_add_u32 s3, s12, s3
	s_addc_u32 s12, 0, s13
	s_mul_i32 s34, s6, s3
	s_mul_hi_u32 s13, s6, s3
	s_mul_i32 s33, s6, s12
	v_sub_co_u32 v1, s10, s10, s34
	s_mul_i32 s14, s7, s3
	s_add_i32 s13, s13, s33
	s_delay_alu instid0(SALU_CYCLE_1) | instskip(NEXT) | instid1(VALU_DEP_1)
	s_add_i32 s13, s13, s14
	v_sub_co_u32 v2, s33, v1, s6
	s_sub_i32 s14, s11, s13
	s_cmp_lg_u32 s10, 0
	s_subb_u32 s14, s14, s7
	s_cmp_lg_u32 s33, 0
	v_readfirstlane_b32 s33, v2
	s_subb_u32 s14, s14, 0
	s_delay_alu instid0(SALU_CYCLE_1) | instskip(SKIP_1) | instid1(VALU_DEP_1)
	s_cmp_ge_u32 s14, s7
	s_cselect_b32 s34, -1, 0
	s_cmp_ge_u32 s33, s6
	s_cselect_b32 s33, -1, 0
	s_cmp_eq_u32 s14, s7
	s_cselect_b32 s14, s33, s34
	s_add_u32 s33, s3, 1
	s_addc_u32 s34, s12, 0
	s_add_u32 s35, s3, 2
	s_addc_u32 s36, s12, 0
	s_cmp_lg_u32 s14, 0
	s_cselect_b32 s14, s35, s33
	s_cselect_b32 s33, s36, s34
	s_cmp_lg_u32 s10, 0
	v_readfirstlane_b32 s10, v1
	s_subb_u32 s11, s11, s13
	s_delay_alu instid0(SALU_CYCLE_1) | instskip(SKIP_1) | instid1(VALU_DEP_1)
	s_cmp_ge_u32 s11, s7
	s_cselect_b32 s13, -1, 0
	s_cmp_ge_u32 s10, s6
	s_cselect_b32 s6, -1, 0
	s_cmp_eq_u32 s11, s7
	s_cselect_b32 s6, s6, s13
	s_delay_alu instid0(SALU_CYCLE_1) | instskip(SKIP_3) | instid1(SALU_CYCLE_1)
	s_cmp_lg_u32 s6, 0
	s_cselect_b32 s7, s33, s12
	s_cselect_b32 s6, s14, s3
	s_xor_b64 s[4:5], s[8:9], s[4:5]
	s_xor_b64 s[6:7], s[6:7], s[4:5]
	s_delay_alu instid0(SALU_CYCLE_1)
	s_sub_u32 s8, s6, s4
	s_and_not1_b32 vcc_lo, exec_lo, s2
	s_cbranch_vccnz .LBB19_3
.LBB19_2:
	v_cvt_f32_u32_e32 v1, s28
	s_sub_i32 s3, 0, s28
	s_delay_alu instid0(VALU_DEP_1) | instskip(SKIP_2) | instid1(VALU_DEP_1)
	v_rcp_iflag_f32_e32 v1, v1
	s_waitcnt_depctr 0xfff
	v_mul_f32_e32 v1, 0x4f7ffffe, v1
	v_cvt_u32_f32_e32 v1, v1
	s_delay_alu instid0(VALU_DEP_1) | instskip(NEXT) | instid1(VALU_DEP_1)
	v_readfirstlane_b32 s2, v1
	s_mul_i32 s3, s3, s2
	s_delay_alu instid0(SALU_CYCLE_1) | instskip(NEXT) | instid1(SALU_CYCLE_1)
	s_mul_hi_u32 s3, s2, s3
	s_add_i32 s2, s2, s3
	s_delay_alu instid0(SALU_CYCLE_1) | instskip(NEXT) | instid1(SALU_CYCLE_1)
	s_mul_hi_u32 s2, s26, s2
	s_mul_i32 s3, s2, s28
	s_add_i32 s4, s2, 1
	s_sub_i32 s3, s26, s3
	s_delay_alu instid0(SALU_CYCLE_1)
	s_sub_i32 s5, s3, s28
	s_cmp_ge_u32 s3, s28
	s_cselect_b32 s2, s4, s2
	s_cselect_b32 s3, s5, s3
	s_add_i32 s4, s2, 1
	s_cmp_ge_u32 s3, s28
	s_cselect_b32 s8, s4, s2
.LBB19_3:
	s_mov_b32 s2, 0
	s_mov_b32 s3, s29
	s_delay_alu instid0(SALU_CYCLE_1)
	s_cmp_lg_u64 s[2:3], 0
	s_cbranch_scc0 .LBB19_22
; %bb.4:
	s_ashr_i32 s4, s29, 31
	s_delay_alu instid0(SALU_CYCLE_1) | instskip(SKIP_2) | instid1(SALU_CYCLE_1)
	s_add_u32 s6, s28, s4
	s_mov_b32 s5, s4
	s_addc_u32 s7, s29, s4
	s_xor_b64 s[6:7], s[6:7], s[4:5]
	s_delay_alu instid0(SALU_CYCLE_1) | instskip(SKIP_3) | instid1(VALU_DEP_1)
	v_cvt_f32_u32_e32 v1, s6
	v_cvt_f32_u32_e32 v2, s7
	s_sub_u32 s10, 0, s6
	s_subb_u32 s11, 0, s7
	v_fmamk_f32 v1, v2, 0x4f800000, v1
	s_delay_alu instid0(VALU_DEP_1) | instskip(SKIP_2) | instid1(VALU_DEP_1)
	v_rcp_f32_e32 v1, v1
	s_waitcnt_depctr 0xfff
	v_mul_f32_e32 v1, 0x5f7ffffc, v1
	v_mul_f32_e32 v2, 0x2f800000, v1
	s_delay_alu instid0(VALU_DEP_1) | instskip(NEXT) | instid1(VALU_DEP_1)
	v_trunc_f32_e32 v2, v2
	v_fmamk_f32 v1, v2, 0xcf800000, v1
	v_cvt_u32_f32_e32 v2, v2
	s_delay_alu instid0(VALU_DEP_2) | instskip(NEXT) | instid1(VALU_DEP_2)
	v_cvt_u32_f32_e32 v1, v1
	v_readfirstlane_b32 s3, v2
	s_delay_alu instid0(VALU_DEP_2) | instskip(NEXT) | instid1(VALU_DEP_2)
	v_readfirstlane_b32 s9, v1
	s_mul_i32 s12, s10, s3
	s_delay_alu instid0(VALU_DEP_1)
	s_mul_hi_u32 s14, s10, s9
	s_mul_i32 s13, s11, s9
	s_add_i32 s12, s14, s12
	s_mul_i32 s33, s10, s9
	s_add_i32 s12, s12, s13
	s_mul_hi_u32 s14, s9, s33
	s_mul_hi_u32 s34, s3, s33
	s_mul_i32 s13, s3, s33
	s_mul_hi_u32 s33, s9, s12
	s_mul_i32 s9, s9, s12
	s_mul_hi_u32 s35, s3, s12
	s_add_u32 s9, s14, s9
	s_addc_u32 s14, 0, s33
	s_add_u32 s9, s9, s13
	s_mul_i32 s12, s3, s12
	s_addc_u32 s9, s14, s34
	s_addc_u32 s13, s35, 0
	s_add_u32 s9, s9, s12
	s_addc_u32 s12, 0, s13
	v_add_co_u32 v1, s9, v1, s9
	s_delay_alu instid0(VALU_DEP_1) | instskip(SKIP_1) | instid1(VALU_DEP_1)
	s_cmp_lg_u32 s9, 0
	s_addc_u32 s3, s3, s12
	v_readfirstlane_b32 s9, v1
	s_mul_i32 s12, s10, s3
	s_delay_alu instid0(VALU_DEP_1)
	s_mul_hi_u32 s13, s10, s9
	s_mul_i32 s11, s11, s9
	s_add_i32 s12, s13, s12
	s_mul_i32 s10, s10, s9
	s_add_i32 s12, s12, s11
	s_mul_hi_u32 s13, s3, s10
	s_mul_i32 s14, s3, s10
	s_mul_hi_u32 s10, s9, s10
	s_mul_hi_u32 s33, s9, s12
	s_mul_i32 s9, s9, s12
	s_mul_hi_u32 s11, s3, s12
	s_add_u32 s9, s10, s9
	s_addc_u32 s10, 0, s33
	s_add_u32 s9, s9, s14
	s_mul_i32 s12, s3, s12
	s_addc_u32 s9, s10, s13
	s_addc_u32 s10, s11, 0
	s_add_u32 s9, s9, s12
	s_addc_u32 s10, 0, s10
	v_add_co_u32 v1, s9, v1, s9
	s_delay_alu instid0(VALU_DEP_1) | instskip(SKIP_1) | instid1(SALU_CYCLE_1)
	s_cmp_lg_u32 s9, 0
	s_addc_u32 s3, s3, s10
	s_lshr_b32 s3, s3, 27
	s_delay_alu instid0(SALU_CYCLE_1)
	s_mul_i32 s9, s7, s3
	s_mul_hi_u32 s10, s6, s3
	s_mul_i32 s11, s6, s3
	s_add_i32 s10, s10, s9
	v_sub_co_u32 v1, s9, 32, s11
	s_sub_i32 s11, 0, s10
	s_cmp_lg_u32 s9, 0
	s_delay_alu instid0(VALU_DEP_1) | instskip(SKIP_2) | instid1(VALU_DEP_1)
	v_sub_co_u32 v2, s12, v1, s6
	s_subb_u32 s11, s11, s7
	s_cmp_lg_u32 s12, 0
	v_readfirstlane_b32 s12, v2
	s_subb_u32 s11, s11, 0
	s_delay_alu instid0(SALU_CYCLE_1) | instskip(SKIP_1) | instid1(VALU_DEP_1)
	s_cmp_ge_u32 s11, s7
	s_cselect_b32 s13, -1, 0
	s_cmp_ge_u32 s12, s6
	s_cselect_b32 s12, -1, 0
	s_cmp_eq_u32 s11, s7
	s_cselect_b32 s11, s12, s13
	s_add_u32 s12, s3, 1
	s_addc_u32 s13, 0, 0
	s_add_u32 s14, s3, 2
	s_addc_u32 s33, 0, 0
	s_cmp_lg_u32 s11, 0
	s_cselect_b32 s11, s14, s12
	s_cselect_b32 s12, s33, s13
	s_cmp_lg_u32 s9, 0
	v_readfirstlane_b32 s9, v1
	s_subb_u32 s10, 0, s10
	s_delay_alu instid0(SALU_CYCLE_1) | instskip(SKIP_1) | instid1(VALU_DEP_1)
	s_cmp_ge_u32 s10, s7
	s_cselect_b32 s13, -1, 0
	s_cmp_ge_u32 s9, s6
	s_cselect_b32 s6, -1, 0
	s_cmp_eq_u32 s10, s7
	s_cselect_b32 s6, s6, s13
	s_delay_alu instid0(SALU_CYCLE_1) | instskip(SKIP_2) | instid1(SALU_CYCLE_1)
	s_cmp_lg_u32 s6, 0
	s_cselect_b32 s7, s12, 0
	s_cselect_b32 s6, s11, s3
	s_xor_b64 s[6:7], s[6:7], s[4:5]
	s_delay_alu instid0(SALU_CYCLE_1)
	s_sub_u32 s6, s6, s4
	s_subb_u32 s7, s7, s4
	s_and_not1_b32 vcc_lo, exec_lo, s2
	s_cbranch_vccnz .LBB19_6
.LBB19_5:
	v_cvt_f32_u32_e32 v1, s28
	s_sub_i32 s3, 0, s28
	s_mov_b32 s7, 0
	s_delay_alu instid0(VALU_DEP_1) | instskip(SKIP_2) | instid1(VALU_DEP_1)
	v_rcp_iflag_f32_e32 v1, v1
	s_waitcnt_depctr 0xfff
	v_mul_f32_e32 v1, 0x4f7ffffe, v1
	v_cvt_u32_f32_e32 v1, v1
	s_delay_alu instid0(VALU_DEP_1) | instskip(NEXT) | instid1(VALU_DEP_1)
	v_readfirstlane_b32 s2, v1
	s_mul_i32 s3, s3, s2
	s_delay_alu instid0(SALU_CYCLE_1) | instskip(NEXT) | instid1(SALU_CYCLE_1)
	s_mul_hi_u32 s3, s2, s3
	s_add_i32 s2, s2, s3
	s_delay_alu instid0(SALU_CYCLE_1) | instskip(NEXT) | instid1(SALU_CYCLE_1)
	s_lshr_b32 s2, s2, 27
	s_mul_i32 s3, s2, s28
	s_add_i32 s4, s2, 1
	s_sub_i32 s3, 32, s3
	s_delay_alu instid0(SALU_CYCLE_1)
	s_sub_i32 s5, s3, s28
	s_cmp_ge_u32 s3, s28
	s_cselect_b32 s2, s4, s2
	s_cselect_b32 s3, s5, s3
	s_add_i32 s4, s2, 1
	s_cmp_ge_u32 s3, s28
	s_cselect_b32 s6, s4, s2
.LBB19_6:
	s_delay_alu instid0(SALU_CYCLE_1) | instskip(NEXT) | instid1(VALU_DEP_1)
	v_cmp_gt_i64_e64 s2, s[6:7], 1
	s_and_b32 s2, s2, exec_lo
	s_cselect_b32 s2, s6, 1
	s_abs_i32 s3, s28
	s_delay_alu instid0(SALU_CYCLE_1) | instskip(SKIP_1) | instid1(VALU_DEP_1)
	v_cvt_f32_u32_e32 v1, s3
	s_sub_i32 s4, 0, s3
	v_rcp_iflag_f32_e32 v1, v1
	s_waitcnt_depctr 0xfff
	v_mul_f32_e32 v1, 0x4f7ffffe, v1
	s_delay_alu instid0(VALU_DEP_1) | instskip(NEXT) | instid1(VALU_DEP_1)
	v_cvt_u32_f32_e32 v1, v1
	v_mul_lo_u32 v2, s4, v1
	s_mov_b32 s4, 0
	s_delay_alu instid0(VALU_DEP_1) | instskip(SKIP_2) | instid1(VALU_DEP_3)
	v_mul_hi_u32 v3, v1, v2
	v_and_b32_e32 v2, 0x3ff, v0
	v_bfe_u32 v0, v0, 10, 10
	v_add_nc_u32_e32 v1, v1, v3
	s_delay_alu instid0(VALU_DEP_1) | instskip(NEXT) | instid1(VALU_DEP_1)
	v_mul_hi_u32 v1, v2, v1
	v_mul_lo_u32 v3, v1, s3
	v_add_nc_u32_e32 v4, 1, v1
	s_delay_alu instid0(VALU_DEP_2) | instskip(NEXT) | instid1(VALU_DEP_1)
	v_sub_nc_u32_e32 v3, v2, v3
	v_subrev_nc_u32_e32 v5, s3, v3
	v_cmp_le_u32_e32 vcc_lo, s3, v3
	s_delay_alu instid0(VALU_DEP_4) | instskip(NEXT) | instid1(VALU_DEP_3)
	v_cndmask_b32_e32 v1, v1, v4, vcc_lo
	v_cndmask_b32_e32 v3, v3, v5, vcc_lo
	s_delay_alu instid0(VALU_DEP_2) | instskip(NEXT) | instid1(VALU_DEP_2)
	v_add_nc_u32_e32 v4, 1, v1
	v_cmp_le_u32_e32 vcc_lo, s3, v3
	s_ashr_i32 s3, s28, 31
	v_add_nc_u32_e32 v3, s15, v0
	s_delay_alu instid0(VALU_DEP_3) | instskip(NEXT) | instid1(VALU_DEP_1)
	v_cndmask_b32_e32 v1, v1, v4, vcc_lo
	v_xor_b32_e32 v1, s3, v1
	s_delay_alu instid0(VALU_DEP_1) | instskip(NEXT) | instid1(VALU_DEP_1)
	v_subrev_nc_u32_e32 v4, s3, v1
	v_mad_u64_u32 v[0:1], null, v3, s2, v[4:5]
	v_mov_b32_e32 v1, 0
	s_mov_b32 s2, exec_lo
	s_delay_alu instid0(VALU_DEP_1)
	v_cmpx_gt_i64_e64 s[24:25], v[0:1]
	s_cbranch_execz .LBB19_202
; %bb.7:
	v_mul_lo_u32 v3, v4, s28
	s_mov_b32 s7, s4
	s_mov_b32 s5, s4
	;; [unrolled: 1-line block ×3, first 2 shown]
	s_delay_alu instid0(SALU_CYCLE_1) | instskip(SKIP_1) | instid1(VALU_DEP_3)
	v_dual_mov_b32 v13, s7 :: v_dual_mov_b32 v12, s6
	v_dual_mov_b32 v11, s5 :: v_dual_mov_b32 v10, s4
	v_sub_nc_u32_e32 v9, v2, v3
	v_dual_mov_b32 v5, 0xff7fffff :: v_dual_mov_b32 v6, 0xff7fffff
	v_mov_b32_e32 v3, v1
	s_cmp_gt_i32 s8, 0
	s_delay_alu instid0(VALU_DEP_3)
	v_mul_lo_u32 v2, v9, s8
	s_cselect_b32 s14, -1, 0
	s_cmp_lt_i32 s8, 1
	s_clause 0xf
	scratch_store_b128 off, v[10:13], off offset:112
	scratch_store_b128 off, v[10:13], off offset:96
	;; [unrolled: 1-line block ×7, first 2 shown]
	scratch_store_b128 off, v[10:13], off
	scratch_store_b128 off, v[10:13], off offset:240
	scratch_store_b128 off, v[10:13], off offset:224
	;; [unrolled: 1-line block ×8, first 2 shown]
	s_cbranch_scc1 .LBB19_78
; %bb.8:
	v_mad_u64_u32 v[5:6], null, s26, v0, 0
	s_bfe_i64 s[2:3], s[26:27], 0x200000
	s_mov_b32 s2, 0
	s_delay_alu instid0(VALU_DEP_1) | instskip(NEXT) | instid1(VALU_DEP_1)
	v_mov_b32_e32 v3, v6
	v_mad_u64_u32 v[6:7], null, s3, v0, v[3:4]
	v_ashrrev_i32_e32 v3, 31, v2
	s_mov_b32 s3, s8
	s_delay_alu instid0(VALU_DEP_1) | instskip(NEXT) | instid1(VALU_DEP_3)
	v_lshlrev_b64 v[7:8], 1, v[2:3]
	v_lshlrev_b64 v[5:6], 1, v[5:6]
	s_delay_alu instid0(VALU_DEP_1) | instskip(NEXT) | instid1(VALU_DEP_2)
	v_add_co_u32 v3, vcc_lo, s16, v5
	v_add_co_ci_u32_e32 v6, vcc_lo, s17, v6, vcc_lo
	s_delay_alu instid0(VALU_DEP_2) | instskip(NEXT) | instid1(VALU_DEP_2)
	v_add_co_u32 v5, vcc_lo, v3, v7
	v_add_co_ci_u32_e32 v6, vcc_lo, v6, v8, vcc_lo
	v_add_co_u32 v7, vcc_lo, s18, v7
	v_add_co_ci_u32_e32 v8, vcc_lo, s19, v8, vcc_lo
	.p2align	6
.LBB19_9:                               ; =>This Inner Loop Header: Depth=1
	global_load_u16 v3, v[5:6], off
	global_load_u16 v10, v[7:8], off
	v_add_co_u32 v5, vcc_lo, v5, 2
	v_add_co_ci_u32_e32 v6, vcc_lo, 0, v6, vcc_lo
	v_add_co_u32 v7, vcc_lo, v7, 2
	v_add_co_ci_u32_e32 v8, vcc_lo, 0, v8, vcc_lo
	s_add_i32 s3, s3, -1
	s_add_i32 s4, s2, 0
	s_add_i32 s5, s2, 0x80
	;; [unrolled: 1-line block ×3, first 2 shown]
	s_cmp_lg_u32 s3, 0
	s_waitcnt vmcnt(1)
	v_lshlrev_b32_e32 v3, 16, v3
	s_waitcnt vmcnt(0)
	v_lshlrev_b32_e32 v10, 16, v10
	scratch_store_b32 off, v3, s4
	scratch_store_b32 off, v10, s5
	s_cbranch_scc1 .LBB19_9
; %bb.10:
	s_cmp_lt_u32 s8, 4
	s_mov_b32 s2, 0
	s_cbranch_scc1 .LBB19_23
; %bb.11:
	s_and_b32 s2, s8, 0x7ffffffc
	s_or_b32 s3, 0, 8
	s_mov_b32 s4, 0
	s_branch .LBB19_13
.LBB19_12:                              ;   in Loop: Header=BB19_13 Depth=1
	s_or_b32 exec_lo, exec_lo, s6
	s_add_i32 s4, s4, 4
	s_add_i32 s3, s3, 16
	s_cmp_lg_u32 s2, s4
	scratch_store_b32 off, v5, s5
	s_cbranch_scc0 .LBB19_23
.LBB19_13:                              ; =>This Inner Loop Header: Depth=1
	scratch_load_b32 v5, off, s3 offset:-8
	v_dual_mov_b32 v3, 0 :: v_dual_mov_b32 v6, 0
	s_mov_b32 s5, exec_lo
	s_waitcnt vmcnt(0)
	v_cmpx_o_f32_e32 v5, v5
	s_cbranch_execz .LBB19_15
; %bb.14:                               ;   in Loop: Header=BB19_13 Depth=1
	v_mul_f32_e32 v6, 0xbfb8aa3b, v5
	v_cmp_nlt_f32_e32 vcc_lo, 0x42ce8ed0, v5
	s_delay_alu instid0(VALU_DEP_2) | instskip(SKIP_1) | instid1(VALU_DEP_2)
	v_rndne_f32_e32 v7, v6
	v_fma_f32 v8, 0xbfb8aa3b, v5, -v6
	v_sub_f32_e32 v6, v6, v7
	s_delay_alu instid0(VALU_DEP_2) | instskip(SKIP_1) | instid1(VALU_DEP_2)
	v_fmac_f32_e32 v8, 0xb2a5705f, v5
	v_cvt_i32_f32_e32 v7, v7
	v_add_f32_e32 v6, v6, v8
	s_delay_alu instid0(VALU_DEP_1) | instskip(SKIP_2) | instid1(VALU_DEP_1)
	v_exp_f32_e32 v6, v6
	s_waitcnt_depctr 0xfff
	v_ldexp_f32 v6, v6, v7
	v_cndmask_b32_e32 v6, 0, v6, vcc_lo
	v_cmp_ngt_f32_e32 vcc_lo, 0xc2b17218, v5
	s_delay_alu instid0(VALU_DEP_2) | instskip(NEXT) | instid1(VALU_DEP_1)
	v_cndmask_b32_e32 v5, 0x7f800000, v6, vcc_lo
	v_add_f32_e32 v5, 1.0, v5
	s_delay_alu instid0(VALU_DEP_1) | instskip(NEXT) | instid1(VALU_DEP_1)
	v_div_scale_f32 v6, null, v5, v5, 1.0
	v_rcp_f32_e32 v7, v6
	s_waitcnt_depctr 0xfff
	v_fma_f32 v8, -v6, v7, 1.0
	s_delay_alu instid0(VALU_DEP_1) | instskip(SKIP_1) | instid1(VALU_DEP_1)
	v_fmac_f32_e32 v7, v8, v7
	v_div_scale_f32 v8, vcc_lo, 1.0, v5, 1.0
	v_mul_f32_e32 v10, v8, v7
	s_delay_alu instid0(VALU_DEP_1) | instskip(NEXT) | instid1(VALU_DEP_1)
	v_fma_f32 v11, -v6, v10, v8
	v_fmac_f32_e32 v10, v11, v7
	s_delay_alu instid0(VALU_DEP_1) | instskip(NEXT) | instid1(VALU_DEP_1)
	v_fma_f32 v6, -v6, v10, v8
	v_div_fmas_f32 v6, v6, v7, v10
	s_delay_alu instid0(VALU_DEP_1)
	v_div_fixup_f32 v6, v6, v5, 1.0
.LBB19_15:                              ;   in Loop: Header=BB19_13 Depth=1
	s_or_b32 exec_lo, exec_lo, s5
	scratch_load_b32 v5, off, s3 offset:-4
	s_mov_b32 s5, exec_lo
	scratch_store_b32 off, v6, s3 offset:-8
	s_waitcnt vmcnt(0)
	v_cmpx_o_f32_e32 v5, v5
	s_cbranch_execz .LBB19_17
; %bb.16:                               ;   in Loop: Header=BB19_13 Depth=1
	v_mul_f32_e32 v3, 0xbfb8aa3b, v5
	v_cmp_nlt_f32_e32 vcc_lo, 0x42ce8ed0, v5
	s_delay_alu instid0(VALU_DEP_2) | instskip(SKIP_1) | instid1(VALU_DEP_2)
	v_rndne_f32_e32 v6, v3
	v_fma_f32 v7, 0xbfb8aa3b, v5, -v3
	v_sub_f32_e32 v3, v3, v6
	s_delay_alu instid0(VALU_DEP_2) | instskip(SKIP_1) | instid1(VALU_DEP_2)
	v_fmac_f32_e32 v7, 0xb2a5705f, v5
	v_cvt_i32_f32_e32 v6, v6
	v_add_f32_e32 v3, v3, v7
	s_delay_alu instid0(VALU_DEP_1) | instskip(SKIP_2) | instid1(VALU_DEP_1)
	v_exp_f32_e32 v3, v3
	s_waitcnt_depctr 0xfff
	v_ldexp_f32 v3, v3, v6
	v_cndmask_b32_e32 v3, 0, v3, vcc_lo
	v_cmp_ngt_f32_e32 vcc_lo, 0xc2b17218, v5
	s_delay_alu instid0(VALU_DEP_2) | instskip(NEXT) | instid1(VALU_DEP_1)
	v_cndmask_b32_e32 v3, 0x7f800000, v3, vcc_lo
	v_add_f32_e32 v3, 1.0, v3
	s_delay_alu instid0(VALU_DEP_1) | instskip(NEXT) | instid1(VALU_DEP_1)
	v_div_scale_f32 v5, null, v3, v3, 1.0
	v_rcp_f32_e32 v6, v5
	s_waitcnt_depctr 0xfff
	v_fma_f32 v7, -v5, v6, 1.0
	s_delay_alu instid0(VALU_DEP_1) | instskip(SKIP_1) | instid1(VALU_DEP_1)
	v_fmac_f32_e32 v6, v7, v6
	v_div_scale_f32 v7, vcc_lo, 1.0, v3, 1.0
	v_mul_f32_e32 v8, v7, v6
	s_delay_alu instid0(VALU_DEP_1) | instskip(NEXT) | instid1(VALU_DEP_1)
	v_fma_f32 v10, -v5, v8, v7
	v_fmac_f32_e32 v8, v10, v6
	s_delay_alu instid0(VALU_DEP_1) | instskip(NEXT) | instid1(VALU_DEP_1)
	v_fma_f32 v5, -v5, v8, v7
	v_div_fmas_f32 v5, v5, v6, v8
	s_delay_alu instid0(VALU_DEP_1)
	v_div_fixup_f32 v3, v5, v3, 1.0
.LBB19_17:                              ;   in Loop: Header=BB19_13 Depth=1
	s_or_b32 exec_lo, exec_lo, s5
	scratch_load_b32 v6, off, s3
	v_mov_b32_e32 v5, 0
	v_mov_b32_e32 v7, 0
	s_mov_b32 s5, exec_lo
	scratch_store_b32 off, v3, s3 offset:-4
	s_waitcnt vmcnt(0)
	v_cmpx_o_f32_e32 v6, v6
	s_cbranch_execz .LBB19_19
; %bb.18:                               ;   in Loop: Header=BB19_13 Depth=1
	v_mul_f32_e32 v3, 0xbfb8aa3b, v6
	v_cmp_nlt_f32_e32 vcc_lo, 0x42ce8ed0, v6
	s_delay_alu instid0(VALU_DEP_2) | instskip(SKIP_1) | instid1(VALU_DEP_1)
	v_rndne_f32_e32 v7, v3
	v_fma_f32 v8, 0xbfb8aa3b, v6, -v3
	v_dual_sub_f32 v3, v3, v7 :: v_dual_fmac_f32 v8, 0xb2a5705f, v6
	v_cvt_i32_f32_e32 v7, v7
	s_delay_alu instid0(VALU_DEP_2) | instskip(NEXT) | instid1(VALU_DEP_1)
	v_add_f32_e32 v3, v3, v8
	v_exp_f32_e32 v3, v3
	s_waitcnt_depctr 0xfff
	v_ldexp_f32 v3, v3, v7
	s_delay_alu instid0(VALU_DEP_1) | instskip(SKIP_1) | instid1(VALU_DEP_2)
	v_cndmask_b32_e32 v3, 0, v3, vcc_lo
	v_cmp_ngt_f32_e32 vcc_lo, 0xc2b17218, v6
	v_cndmask_b32_e32 v3, 0x7f800000, v3, vcc_lo
	s_delay_alu instid0(VALU_DEP_1) | instskip(NEXT) | instid1(VALU_DEP_1)
	v_add_f32_e32 v3, 1.0, v3
	v_div_scale_f32 v6, null, v3, v3, 1.0
	s_delay_alu instid0(VALU_DEP_1) | instskip(SKIP_2) | instid1(VALU_DEP_1)
	v_rcp_f32_e32 v7, v6
	s_waitcnt_depctr 0xfff
	v_fma_f32 v8, -v6, v7, 1.0
	v_fmac_f32_e32 v7, v8, v7
	v_div_scale_f32 v8, vcc_lo, 1.0, v3, 1.0
	s_delay_alu instid0(VALU_DEP_1) | instskip(NEXT) | instid1(VALU_DEP_1)
	v_mul_f32_e32 v10, v8, v7
	v_fma_f32 v11, -v6, v10, v8
	s_delay_alu instid0(VALU_DEP_1) | instskip(NEXT) | instid1(VALU_DEP_1)
	v_fmac_f32_e32 v10, v11, v7
	v_fma_f32 v6, -v6, v10, v8
	s_delay_alu instid0(VALU_DEP_1) | instskip(NEXT) | instid1(VALU_DEP_1)
	v_div_fmas_f32 v6, v6, v7, v10
	v_div_fixup_f32 v7, v6, v3, 1.0
.LBB19_19:                              ;   in Loop: Header=BB19_13 Depth=1
	s_or_b32 exec_lo, exec_lo, s5
	s_add_i32 s5, s3, 4
	s_mov_b32 s6, exec_lo
	scratch_load_b32 v3, off, s5
	scratch_store_b32 off, v7, s3
	s_waitcnt vmcnt(0)
	v_cmpx_o_f32_e32 v3, v3
	s_cbranch_execz .LBB19_12
; %bb.20:                               ;   in Loop: Header=BB19_13 Depth=1
	v_mul_f32_e32 v5, 0xbfb8aa3b, v3
	v_cmp_nlt_f32_e32 vcc_lo, 0x42ce8ed0, v3
	s_delay_alu instid0(VALU_DEP_2) | instskip(SKIP_1) | instid1(VALU_DEP_2)
	v_rndne_f32_e32 v6, v5
	v_fma_f32 v7, 0xbfb8aa3b, v3, -v5
	v_sub_f32_e32 v5, v5, v6
	s_delay_alu instid0(VALU_DEP_2) | instskip(SKIP_1) | instid1(VALU_DEP_2)
	v_fmac_f32_e32 v7, 0xb2a5705f, v3
	v_cvt_i32_f32_e32 v6, v6
	v_add_f32_e32 v5, v5, v7
	s_delay_alu instid0(VALU_DEP_1) | instskip(SKIP_2) | instid1(VALU_DEP_1)
	v_exp_f32_e32 v5, v5
	s_waitcnt_depctr 0xfff
	v_ldexp_f32 v5, v5, v6
	v_cndmask_b32_e32 v5, 0, v5, vcc_lo
	v_cmp_ngt_f32_e32 vcc_lo, 0xc2b17218, v3
	s_delay_alu instid0(VALU_DEP_2) | instskip(NEXT) | instid1(VALU_DEP_1)
	v_cndmask_b32_e32 v3, 0x7f800000, v5, vcc_lo
	v_add_f32_e32 v3, 1.0, v3
	s_delay_alu instid0(VALU_DEP_1) | instskip(NEXT) | instid1(VALU_DEP_1)
	v_div_scale_f32 v5, null, v3, v3, 1.0
	v_rcp_f32_e32 v6, v5
	s_waitcnt_depctr 0xfff
	v_fma_f32 v7, -v5, v6, 1.0
	s_delay_alu instid0(VALU_DEP_1) | instskip(SKIP_1) | instid1(VALU_DEP_1)
	v_fmac_f32_e32 v6, v7, v6
	v_div_scale_f32 v7, vcc_lo, 1.0, v3, 1.0
	v_mul_f32_e32 v8, v7, v6
	s_delay_alu instid0(VALU_DEP_1) | instskip(NEXT) | instid1(VALU_DEP_1)
	v_fma_f32 v10, -v5, v8, v7
	v_fmac_f32_e32 v8, v10, v6
	s_delay_alu instid0(VALU_DEP_1) | instskip(NEXT) | instid1(VALU_DEP_1)
	v_fma_f32 v5, -v5, v8, v7
	v_div_fmas_f32 v5, v5, v6, v8
	s_delay_alu instid0(VALU_DEP_1)
	v_div_fixup_f32 v5, v5, v3, 1.0
	s_branch .LBB19_12
.LBB19_21:
                                        ; implicit-def: $sgpr8_sgpr9
	s_branch .LBB19_2
.LBB19_22:
                                        ; implicit-def: $sgpr6_sgpr7
	s_branch .LBB19_5
.LBB19_23:
	s_and_b32 s3, s8, 3
	s_mov_b32 s5, 0
	s_cmp_eq_u32 s3, 0
	s_cbranch_scc1 .LBB19_28
; %bb.24:
	s_lshl_b32 s2, s2, 2
	s_delay_alu instid0(SALU_CYCLE_1)
	v_add_nc_u32_e64 v3, s2, 0
	s_branch .LBB19_26
.LBB19_25:                              ;   in Loop: Header=BB19_26 Depth=1
	s_or_b32 exec_lo, exec_lo, s2
	scratch_store_b32 v3, v6, off
	v_add_nc_u32_e32 v3, 4, v3
	s_add_i32 s3, s3, -1
	s_delay_alu instid0(SALU_CYCLE_1)
	s_cmp_lg_u32 s3, 0
	s_cbranch_scc0 .LBB19_28
.LBB19_26:                              ; =>This Inner Loop Header: Depth=1
	scratch_load_b32 v5, v3, off
	v_mov_b32_e32 v6, 0
	s_mov_b32 s2, exec_lo
	s_waitcnt vmcnt(0)
	v_cmpx_o_f32_e32 v5, v5
	s_cbranch_execz .LBB19_25
; %bb.27:                               ;   in Loop: Header=BB19_26 Depth=1
	v_mul_f32_e32 v6, 0xbfb8aa3b, v5
	v_cmp_nlt_f32_e32 vcc_lo, 0x42ce8ed0, v5
	s_delay_alu instid0(VALU_DEP_2) | instskip(SKIP_1) | instid1(VALU_DEP_2)
	v_rndne_f32_e32 v7, v6
	v_fma_f32 v8, 0xbfb8aa3b, v5, -v6
	v_sub_f32_e32 v6, v6, v7
	s_delay_alu instid0(VALU_DEP_2) | instskip(SKIP_1) | instid1(VALU_DEP_2)
	v_fmac_f32_e32 v8, 0xb2a5705f, v5
	v_cvt_i32_f32_e32 v7, v7
	v_add_f32_e32 v6, v6, v8
	s_delay_alu instid0(VALU_DEP_1) | instskip(SKIP_2) | instid1(VALU_DEP_1)
	v_exp_f32_e32 v6, v6
	s_waitcnt_depctr 0xfff
	v_ldexp_f32 v6, v6, v7
	v_cndmask_b32_e32 v6, 0, v6, vcc_lo
	v_cmp_ngt_f32_e32 vcc_lo, 0xc2b17218, v5
	s_delay_alu instid0(VALU_DEP_2) | instskip(NEXT) | instid1(VALU_DEP_1)
	v_cndmask_b32_e32 v5, 0x7f800000, v6, vcc_lo
	v_add_f32_e32 v5, 1.0, v5
	s_delay_alu instid0(VALU_DEP_1) | instskip(NEXT) | instid1(VALU_DEP_1)
	v_div_scale_f32 v6, null, v5, v5, 1.0
	v_rcp_f32_e32 v7, v6
	s_waitcnt_depctr 0xfff
	v_fma_f32 v8, -v6, v7, 1.0
	s_delay_alu instid0(VALU_DEP_1) | instskip(SKIP_1) | instid1(VALU_DEP_1)
	v_fmac_f32_e32 v7, v8, v7
	v_div_scale_f32 v8, vcc_lo, 1.0, v5, 1.0
	v_mul_f32_e32 v10, v8, v7
	s_delay_alu instid0(VALU_DEP_1) | instskip(NEXT) | instid1(VALU_DEP_1)
	v_fma_f32 v11, -v6, v10, v8
	v_fmac_f32_e32 v10, v11, v7
	s_delay_alu instid0(VALU_DEP_1) | instskip(NEXT) | instid1(VALU_DEP_1)
	v_fma_f32 v6, -v6, v10, v8
	v_div_fmas_f32 v6, v6, v7, v10
	s_delay_alu instid0(VALU_DEP_1)
	v_div_fixup_f32 v6, v6, v5, 1.0
	s_branch .LBB19_25
.LBB19_28:
	s_cmp_gt_u32 s8, 7
	s_cselect_b32 s6, -1, 0
	s_cmp_lt_u32 s8, 8
	s_cbranch_scc1 .LBB19_31
; %bb.29:
	s_and_b32 s5, s8, 0x7ffffff8
	s_mov_b32 s2, 0
	s_mov_b32 s3, 0
	s_set_inst_prefetch_distance 0x1
	.p2align	6
.LBB19_30:                              ; =>This Inner Loop Header: Depth=1
	s_add_i32 s4, s2, 0
	s_add_i32 s7, s2, 0x80
	scratch_load_b128 v[5:8], off, s4
	scratch_load_b128 v[10:13], off, s7
	v_add_nc_u32_e64 v3, s2, 0
	v_add_nc_u32_e64 v14, 0x80, s2
	s_add_i32 s3, s3, 8
	s_add_i32 s2, s2, 32
	s_cmp_lg_u32 s5, s3
	v_add_nc_u32_e32 v3, 16, v3
	s_waitcnt vmcnt(0)
	v_dual_add_f32 v7, v7, v12 :: v_dual_add_nc_u32 v22, 16, v14
	v_add_f32_e32 v8, v8, v13
	scratch_load_b128 v[14:17], v3, off
	scratch_load_b128 v[18:21], v22, off
	v_dual_add_f32 v5, v5, v10 :: v_dual_add_f32 v6, v6, v11
	s_waitcnt vmcnt(0)
	v_dual_add_f32 v10, v14, v18 :: v_dual_add_f32 v11, v15, v19
	v_dual_add_f32 v12, v16, v20 :: v_dual_add_f32 v13, v17, v21
	s_clause 0x1
	scratch_store_b128 off, v[5:8], s7
	scratch_store_b128 v22, v[10:13], off
	s_cbranch_scc1 .LBB19_30
.LBB19_31:
	s_set_inst_prefetch_distance 0x2
	s_and_b32 s2, s8, 7
	s_mov_b32 s4, 0
	s_cmp_lg_u32 s2, 0
	s_cselect_b32 s3, -1, 0
	s_cmp_eq_u32 s2, 0
	s_cbranch_scc1 .LBB19_34
; %bb.32:
	s_lshl_b32 s5, s5, 2
	s_delay_alu instid0(SALU_CYCLE_1)
	v_add_nc_u32_e64 v3, 0x80, s5
	v_add_nc_u32_e64 v5, s5, 0
	s_mov_b32 s5, s2
.LBB19_33:                              ; =>This Inner Loop Header: Depth=1
	scratch_load_b32 v6, v5, off
	scratch_load_b32 v7, v3, off
	s_add_i32 s5, s5, -1
	v_add_nc_u32_e32 v5, 4, v5
	s_cmp_lg_u32 s5, 0
	s_waitcnt vmcnt(0)
	v_add_f32_e32 v6, v6, v7
	scratch_store_b32 v3, v6, off
	v_add_nc_u32_e32 v3, 4, v3
	s_cbranch_scc1 .LBB19_33
.LBB19_34:
	v_mov_b32_e32 v6, 0xff7fffff
	s_and_not1_b32 vcc_lo, exec_lo, s6
	s_cbranch_vccnz .LBB19_69
; %bb.35:
	v_add_nc_u32_e64 v3, 0x80, 28
	v_dual_mov_b32 v5, 0xff7fffff :: v_dual_mov_b32 v6, 0xff7fffff
	s_and_b32 s4, s8, 0x7ffffff8
	s_mov_b32 s5, 0
	s_branch .LBB19_38
.LBB19_36:                              ;   in Loop: Header=BB19_38 Depth=1
	s_or_b32 exec_lo, exec_lo, s7
	s_delay_alu instid0(VALU_DEP_1)
	v_dual_mov_b32 v6, v10 :: v_dual_mov_b32 v5, v7
.LBB19_37:                              ;   in Loop: Header=BB19_38 Depth=1
	s_or_b32 exec_lo, exec_lo, s6
	v_add_nc_u32_e32 v3, 32, v3
	s_add_i32 s5, s5, 8
	s_delay_alu instid0(SALU_CYCLE_1)
	s_cmp_eq_u32 s4, s5
	s_cbranch_scc1 .LBB19_70
.LBB19_38:                              ; =>This Inner Loop Header: Depth=1
	scratch_load_b32 v7, v3, off offset:-28
	v_mov_b32_e32 v8, v5
	s_mov_b32 s6, exec_lo
	s_waitcnt vmcnt(0)
	v_cmpx_ngt_f32_e32 v7, v5
	s_cbranch_execz .LBB19_42
; %bb.39:                               ;   in Loop: Header=BB19_38 Depth=1
	s_mov_b32 s7, exec_lo
	v_cmpx_gt_f32_e32 v7, v6
; %bb.40:                               ;   in Loop: Header=BB19_38 Depth=1
	v_mov_b32_e32 v6, v7
; %bb.41:                               ;   in Loop: Header=BB19_38 Depth=1
	s_or_b32 exec_lo, exec_lo, s7
	s_delay_alu instid0(VALU_DEP_1)
	v_dual_mov_b32 v8, v6 :: v_dual_mov_b32 v7, v5
.LBB19_42:                              ;   in Loop: Header=BB19_38 Depth=1
	s_or_b32 exec_lo, exec_lo, s6
	scratch_load_b32 v5, v3, off offset:-24
	v_mov_b32_e32 v10, v7
	s_mov_b32 s6, exec_lo
	s_waitcnt vmcnt(0)
	v_cmpx_ngt_f32_e32 v5, v7
	s_cbranch_execz .LBB19_46
; %bb.43:                               ;   in Loop: Header=BB19_38 Depth=1
	s_mov_b32 s7, exec_lo
	v_cmpx_gt_f32_e32 v5, v8
; %bb.44:                               ;   in Loop: Header=BB19_38 Depth=1
	v_mov_b32_e32 v8, v5
; %bb.45:                               ;   in Loop: Header=BB19_38 Depth=1
	s_or_b32 exec_lo, exec_lo, s7
	s_delay_alu instid0(VALU_DEP_1)
	v_dual_mov_b32 v10, v8 :: v_dual_mov_b32 v5, v7
.LBB19_46:                              ;   in Loop: Header=BB19_38 Depth=1
	s_or_b32 exec_lo, exec_lo, s6
	scratch_load_b32 v6, v3, off offset:-20
	v_mov_b32_e32 v7, v5
	s_mov_b32 s6, exec_lo
	s_waitcnt vmcnt(0)
	v_cmpx_ngt_f32_e32 v6, v5
	s_cbranch_execz .LBB19_50
; %bb.47:                               ;   in Loop: Header=BB19_38 Depth=1
	s_mov_b32 s7, exec_lo
	v_cmpx_gt_f32_e32 v6, v10
; %bb.48:                               ;   in Loop: Header=BB19_38 Depth=1
	v_mov_b32_e32 v10, v6
; %bb.49:                               ;   in Loop: Header=BB19_38 Depth=1
	s_or_b32 exec_lo, exec_lo, s7
	s_delay_alu instid0(VALU_DEP_1)
	v_dual_mov_b32 v7, v10 :: v_dual_mov_b32 v6, v5
.LBB19_50:                              ;   in Loop: Header=BB19_38 Depth=1
	s_or_b32 exec_lo, exec_lo, s6
	scratch_load_b32 v5, v3, off offset:-16
	v_mov_b32_e32 v8, v6
	s_mov_b32 s6, exec_lo
	s_waitcnt vmcnt(0)
	v_cmpx_ngt_f32_e32 v5, v6
	s_cbranch_execz .LBB19_54
; %bb.51:                               ;   in Loop: Header=BB19_38 Depth=1
	s_mov_b32 s7, exec_lo
	v_cmpx_gt_f32_e32 v5, v7
; %bb.52:                               ;   in Loop: Header=BB19_38 Depth=1
	v_mov_b32_e32 v7, v5
; %bb.53:                               ;   in Loop: Header=BB19_38 Depth=1
	s_or_b32 exec_lo, exec_lo, s7
	s_delay_alu instid0(VALU_DEP_1)
	v_dual_mov_b32 v8, v7 :: v_dual_mov_b32 v5, v6
.LBB19_54:                              ;   in Loop: Header=BB19_38 Depth=1
	s_or_b32 exec_lo, exec_lo, s6
	scratch_load_b32 v6, v3, off offset:-12
	v_mov_b32_e32 v7, v5
	s_mov_b32 s6, exec_lo
	s_waitcnt vmcnt(0)
	v_cmpx_ngt_f32_e32 v6, v5
	s_cbranch_execz .LBB19_58
; %bb.55:                               ;   in Loop: Header=BB19_38 Depth=1
	s_mov_b32 s7, exec_lo
	v_cmpx_gt_f32_e32 v6, v8
; %bb.56:                               ;   in Loop: Header=BB19_38 Depth=1
	v_mov_b32_e32 v8, v6
; %bb.57:                               ;   in Loop: Header=BB19_38 Depth=1
	s_or_b32 exec_lo, exec_lo, s7
	s_delay_alu instid0(VALU_DEP_1)
	v_dual_mov_b32 v7, v8 :: v_dual_mov_b32 v6, v5
.LBB19_58:                              ;   in Loop: Header=BB19_38 Depth=1
	s_or_b32 exec_lo, exec_lo, s6
	scratch_load_b32 v5, v3, off offset:-8
	v_mov_b32_e32 v8, v6
	s_mov_b32 s6, exec_lo
	s_waitcnt vmcnt(0)
	v_cmpx_ngt_f32_e32 v5, v6
	s_cbranch_execz .LBB19_62
; %bb.59:                               ;   in Loop: Header=BB19_38 Depth=1
	s_mov_b32 s7, exec_lo
	v_cmpx_gt_f32_e32 v5, v7
; %bb.60:                               ;   in Loop: Header=BB19_38 Depth=1
	v_mov_b32_e32 v7, v5
; %bb.61:                               ;   in Loop: Header=BB19_38 Depth=1
	s_or_b32 exec_lo, exec_lo, s7
	s_delay_alu instid0(VALU_DEP_1)
	v_dual_mov_b32 v8, v7 :: v_dual_mov_b32 v5, v6
.LBB19_62:                              ;   in Loop: Header=BB19_38 Depth=1
	s_or_b32 exec_lo, exec_lo, s6
	scratch_load_b32 v7, v3, off offset:-4
	v_mov_b32_e32 v10, v5
	s_mov_b32 s6, exec_lo
	s_waitcnt vmcnt(0)
	v_cmpx_ngt_f32_e32 v7, v5
	s_cbranch_execz .LBB19_66
; %bb.63:                               ;   in Loop: Header=BB19_38 Depth=1
	s_mov_b32 s7, exec_lo
	v_cmpx_gt_f32_e32 v7, v8
; %bb.64:                               ;   in Loop: Header=BB19_38 Depth=1
	v_mov_b32_e32 v8, v7
; %bb.65:                               ;   in Loop: Header=BB19_38 Depth=1
	s_or_b32 exec_lo, exec_lo, s7
	s_delay_alu instid0(VALU_DEP_1)
	v_dual_mov_b32 v10, v8 :: v_dual_mov_b32 v7, v5
.LBB19_66:                              ;   in Loop: Header=BB19_38 Depth=1
	s_or_b32 exec_lo, exec_lo, s6
	scratch_load_b32 v5, v3, off
	v_mov_b32_e32 v6, v7
	s_mov_b32 s6, exec_lo
	s_waitcnt vmcnt(0)
	v_cmpx_ngt_f32_e32 v5, v7
	s_cbranch_execz .LBB19_37
; %bb.67:                               ;   in Loop: Header=BB19_38 Depth=1
	s_mov_b32 s7, exec_lo
	v_cmpx_gt_f32_e32 v5, v10
	s_cbranch_execz .LBB19_36
; %bb.68:                               ;   in Loop: Header=BB19_38 Depth=1
	v_mov_b32_e32 v10, v5
	s_branch .LBB19_36
.LBB19_69:
	v_mov_b32_e32 v5, 0xff7fffff
.LBB19_70:
	s_and_not1_b32 vcc_lo, exec_lo, s3
	s_cbranch_vccnz .LBB19_77
; %bb.71:
	s_lshl_b32 s3, s4, 2
	s_delay_alu instid0(SALU_CYCLE_1)
	v_add_nc_u32_e64 v3, 0x80, s3
	s_branch .LBB19_74
	.p2align	6
.LBB19_72:                              ;   in Loop: Header=BB19_74 Depth=1
	s_or_b32 exec_lo, exec_lo, s4
	s_delay_alu instid0(VALU_DEP_1)
	v_dual_mov_b32 v8, v6 :: v_dual_mov_b32 v7, v5
.LBB19_73:                              ;   in Loop: Header=BB19_74 Depth=1
	s_or_b32 exec_lo, exec_lo, s3
	s_delay_alu instid0(VALU_DEP_1) | instskip(NEXT) | instid1(VALU_DEP_2)
	v_dual_mov_b32 v6, v8 :: v_dual_add_nc_u32 v3, 4, v3
	v_mov_b32_e32 v5, v7
	s_add_i32 s2, s2, -1
	s_delay_alu instid0(SALU_CYCLE_1)
	s_cmp_lg_u32 s2, 0
	s_cbranch_scc0 .LBB19_77
.LBB19_74:                              ; =>This Inner Loop Header: Depth=1
	scratch_load_b32 v7, v3, off
	v_mov_b32_e32 v8, v5
	s_mov_b32 s3, exec_lo
	s_waitcnt vmcnt(0)
	v_cmpx_ngt_f32_e32 v7, v5
	s_cbranch_execz .LBB19_73
; %bb.75:                               ;   in Loop: Header=BB19_74 Depth=1
	s_mov_b32 s4, exec_lo
	v_cmpx_gt_f32_e32 v7, v6
	s_cbranch_execz .LBB19_72
; %bb.76:                               ;   in Loop: Header=BB19_74 Depth=1
	v_mov_b32_e32 v6, v7
	s_branch .LBB19_72
.LBB19_77:
	scratch_load_b32 v3, off, off offset:128
.LBB19_78:
	s_bfe_i64 s[2:3], s[28:29], 0x200000
	s_delay_alu instid0(SALU_CYCLE_1) | instskip(SKIP_1) | instid1(SALU_CYCLE_1)
	s_sub_u32 s4, s2, s30
	s_subb_u32 s5, s3, s31
	v_cmp_lt_i64_e64 s2, s[4:5], 1
	s_delay_alu instid0(VALU_DEP_1)
	s_and_b32 vcc_lo, exec_lo, s2
	s_cbranch_vccnz .LBB19_113
; %bb.79:
	s_abs_i32 s9, s8
	s_ashr_i32 s10, s8, 31
	v_cvt_f32_u32_e32 v7, s9
	s_sub_i32 s2, 0, s9
	s_mov_b64 s[6:7], 0
	s_mov_b32 s11, 0x76543210
	s_delay_alu instid0(VALU_DEP_1) | instskip(SKIP_2) | instid1(VALU_DEP_1)
	v_rcp_iflag_f32_e32 v7, v7
	s_waitcnt_depctr 0xfff
	v_mul_f32_e32 v7, 0x4f7ffffe, v7
	v_cvt_u32_f32_e32 v7, v7
	s_delay_alu instid0(VALU_DEP_1) | instskip(NEXT) | instid1(VALU_DEP_1)
	v_mul_lo_u32 v8, s2, v7
	v_mul_hi_u32 v8, v7, v8
	s_delay_alu instid0(VALU_DEP_1)
	v_dual_add_f32 v5, v6, v5 :: v_dual_add_nc_u32 v6, v7, v8
	s_branch .LBB19_82
.LBB19_80:                              ;   in Loop: Header=BB19_82 Depth=1
	s_or_b32 exec_lo, exec_lo, s2
.LBB19_81:                              ;   in Loop: Header=BB19_82 Depth=1
	s_delay_alu instid0(VALU_DEP_1) | instskip(SKIP_2) | instid1(SALU_CYCLE_1)
	v_sub_nc_u32_e32 v8, 0, v7
	s_add_u32 s6, s6, 1
	s_addc_u32 s7, s7, 0
	v_cmp_le_u64_e64 s2, s[4:5], s[6:7]
	s_delay_alu instid0(VALU_DEP_2) | instskip(SKIP_1) | instid1(VALU_DEP_2)
	v_max_i32_e32 v8, v7, v8
	v_ashrrev_i32_e32 v7, 31, v7
	v_mul_hi_u32 v10, v8, v6
	s_delay_alu instid0(VALU_DEP_2) | instskip(NEXT) | instid1(VALU_DEP_2)
	v_xor_b32_e32 v7, s10, v7
	v_mul_lo_u32 v11, v10, s9
	s_delay_alu instid0(VALU_DEP_1) | instskip(NEXT) | instid1(VALU_DEP_1)
	v_sub_nc_u32_e32 v8, v8, v11
	v_subrev_nc_u32_e32 v12, s9, v8
	v_cmp_le_u32_e32 vcc_lo, s9, v8
	s_delay_alu instid0(VALU_DEP_2) | instskip(NEXT) | instid1(VALU_DEP_1)
	v_dual_cndmask_b32 v8, v8, v12 :: v_dual_add_nc_u32 v11, 1, v10
	v_cndmask_b32_e32 v10, v10, v11, vcc_lo
	s_delay_alu instid0(VALU_DEP_2) | instskip(NEXT) | instid1(VALU_DEP_2)
	v_cmp_le_u32_e32 vcc_lo, s9, v8
	v_add_nc_u32_e32 v11, 1, v10
	s_delay_alu instid0(VALU_DEP_1) | instskip(NEXT) | instid1(VALU_DEP_1)
	v_cndmask_b32_e32 v8, v10, v11, vcc_lo
	v_xor_b32_e32 v8, v8, v7
	s_delay_alu instid0(VALU_DEP_1) | instskip(NEXT) | instid1(VALU_DEP_1)
	v_sub_nc_u32_e32 v7, v8, v7
	v_cmp_eq_u32_e32 vcc_lo, v9, v7
	s_waitcnt vmcnt(0)
	v_cndmask_b32_e64 v3, v3, 0x7f7fffff, vcc_lo
	v_cndmask_b32_e64 v5, v5, 0x7f7fffff, vcc_lo
	s_and_b32 vcc_lo, exec_lo, s2
	s_cbranch_vccnz .LBB19_113
.LBB19_82:                              ; =>This Inner Loop Header: Depth=1
	s_cmp_lt_i32 s28, 8
	s_cbranch_scc1 .LBB19_90
; %bb.83:                               ;   in Loop: Header=BB19_82 Depth=1
	s_cmp_lt_i32 s28, 16
	s_cbranch_scc1 .LBB19_91
; %bb.84:                               ;   in Loop: Header=BB19_82 Depth=1
	;; [unrolled: 3-line block ×3, first 2 shown]
	v_mov_b32_e32 v7, v2
	s_cmp_eq_u32 s28, 32
	s_cbranch_scc0 .LBB19_89
; %bb.86:                               ;   in Loop: Header=BB19_82 Depth=1
	s_delay_alu instid0(VALU_DEP_1) | instskip(SKIP_1) | instid1(VALU_DEP_2)
	v_mov_b32_dpp v7, v5 quad_perm:[1,0,3,2] row_mask:0xf bank_mask:0xf
	v_mov_b32_dpp v8, v2 quad_perm:[1,0,3,2] row_mask:0xf bank_mask:0xf
	v_cmp_eq_f32_e32 vcc_lo, v5, v7
	s_delay_alu instid0(VALU_DEP_2) | instskip(SKIP_1) | instid1(VALU_DEP_2)
	v_cmp_lt_i32_e64 s2, v2, v8
	v_cmp_lt_f32_e64 s3, v5, v7
	s_and_b32 s2, vcc_lo, s2
	s_delay_alu instid0(VALU_DEP_1) | instid1(SALU_CYCLE_1)
	s_or_b32 vcc_lo, s3, s2
	v_dual_cndmask_b32 v7, v7, v5 :: v_dual_cndmask_b32 v8, v8, v2
	s_delay_alu instid0(VALU_DEP_1) | instskip(NEXT) | instid1(VALU_DEP_2)
	v_mov_b32_dpp v10, v7 quad_perm:[2,3,0,1] row_mask:0xf bank_mask:0xf
	v_mov_b32_dpp v11, v8 quad_perm:[2,3,0,1] row_mask:0xf bank_mask:0xf
	s_delay_alu instid0(VALU_DEP_2) | instskip(NEXT) | instid1(VALU_DEP_2)
	v_cmp_eq_f32_e32 vcc_lo, v7, v10
	v_cmp_lt_i32_e64 s2, v8, v11
	s_delay_alu instid0(VALU_DEP_1) | instskip(SKIP_2) | instid1(VALU_DEP_2)
	s_and_b32 vcc_lo, vcc_lo, s2
	v_cmp_lt_f32_e64 s2, v7, v10
	v_cndmask_b32_e32 v12, v10, v7, vcc_lo
	s_or_b32 vcc_lo, s2, vcc_lo
	s_delay_alu instid0(VALU_DEP_1) | instskip(SKIP_1) | instid1(VALU_DEP_2)
	v_cndmask_b32_e64 v7, v12, v7, s2
	v_cndmask_b32_e32 v8, v11, v8, vcc_lo
	v_mov_b32_dpp v10, v7 row_xmask:7 row_mask:0xf bank_mask:0xf
	s_delay_alu instid0(VALU_DEP_2) | instskip(NEXT) | instid1(VALU_DEP_2)
	v_mov_b32_dpp v11, v8 row_xmask:7 row_mask:0xf bank_mask:0xf
	v_cmp_eq_f32_e32 vcc_lo, v7, v10
	s_delay_alu instid0(VALU_DEP_2) | instskip(NEXT) | instid1(VALU_DEP_1)
	v_cmp_lt_i32_e64 s2, v8, v11
	s_and_b32 vcc_lo, vcc_lo, s2
	v_cmp_lt_f32_e64 s2, v7, v10
	v_cndmask_b32_e32 v12, v10, v7, vcc_lo
	s_delay_alu instid0(VALU_DEP_2) | instskip(NEXT) | instid1(VALU_DEP_1)
	s_or_b32 vcc_lo, s2, vcc_lo
	v_cndmask_b32_e64 v7, v12, v7, s2
	v_cndmask_b32_e32 v11, v11, v8, vcc_lo
	s_delay_alu instid0(VALU_DEP_2) | instskip(NEXT) | instid1(VALU_DEP_2)
	v_mov_b32_dpp v8, v7 row_xmask:15 row_mask:0xf bank_mask:0xf
	v_mov_b32_dpp v12, v11 row_xmask:15 row_mask:0xf bank_mask:0xf
	s_delay_alu instid0(VALU_DEP_2) | instskip(NEXT) | instid1(VALU_DEP_2)
	v_cmp_eq_f32_e32 vcc_lo, v7, v8
	v_cmp_lt_i32_e64 s2, v11, v12
	s_delay_alu instid0(VALU_DEP_1) | instskip(SKIP_2) | instid1(VALU_DEP_2)
	s_and_b32 vcc_lo, vcc_lo, s2
	v_cmp_lt_f32_e64 s2, v7, v8
	v_cndmask_b32_e32 v10, v8, v7, vcc_lo
	s_or_b32 vcc_lo, s2, vcc_lo
	s_delay_alu instid0(VALU_DEP_1) | instskip(SKIP_2) | instid1(VALU_DEP_2)
	v_cndmask_b32_e64 v8, v10, v7, s2
	v_cndmask_b32_e32 v7, v12, v11, vcc_lo
	s_mov_b32 s2, exec_lo
	v_permlanex16_b32 v10, v8, s11, 0xfedcba98 op_sel:[1,1]
	s_delay_alu instid0(VALU_DEP_1)
	v_cmpx_nlt_f32_e32 v8, v10
; %bb.87:                               ;   in Loop: Header=BB19_82 Depth=1
	s_delay_alu instid0(VALU_DEP_3) | instskip(NEXT) | instid1(VALU_DEP_1)
	v_mov_b32_e32 v7, v7
	v_permlanex16_b32 v11, v7, s11, 0xfedcba98 op_sel:[1,1]
	v_cmp_eq_f32_e32 vcc_lo, v8, v10
	s_delay_alu instid0(VALU_DEP_2) | instskip(NEXT) | instid1(VALU_DEP_1)
	v_min_i32_e32 v7, v7, v11
	v_cndmask_b32_e32 v7, v11, v7, vcc_lo
; %bb.88:                               ;   in Loop: Header=BB19_82 Depth=1
	s_or_b32 exec_lo, exec_lo, s2
.LBB19_89:                              ;   in Loop: Header=BB19_82 Depth=1
	s_cbranch_execz .LBB19_93
	s_branch .LBB19_97
.LBB19_90:                              ;   in Loop: Header=BB19_82 Depth=1
                                        ; implicit-def: $vgpr7
	s_branch .LBB19_103
.LBB19_91:                              ;   in Loop: Header=BB19_82 Depth=1
                                        ; implicit-def: $vgpr7
	s_branch .LBB19_98
.LBB19_92:                              ;   in Loop: Header=BB19_82 Depth=1
                                        ; implicit-def: $vgpr7
.LBB19_93:                              ;   in Loop: Header=BB19_82 Depth=1
	v_mov_b32_e32 v7, v2
	s_cmp_eq_u32 s28, 16
	s_cbranch_scc0 .LBB19_97
; %bb.94:                               ;   in Loop: Header=BB19_82 Depth=1
	s_delay_alu instid0(VALU_DEP_1) | instskip(SKIP_1) | instid1(VALU_DEP_2)
	v_mov_b32_dpp v7, v5 quad_perm:[1,0,3,2] row_mask:0xf bank_mask:0xf
	v_mov_b32_dpp v8, v2 quad_perm:[1,0,3,2] row_mask:0xf bank_mask:0xf
	v_cmp_eq_f32_e32 vcc_lo, v5, v7
	s_delay_alu instid0(VALU_DEP_2) | instskip(SKIP_1) | instid1(VALU_DEP_2)
	v_cmp_lt_i32_e64 s2, v2, v8
	v_cmp_lt_f32_e64 s3, v5, v7
	s_and_b32 s2, vcc_lo, s2
	s_delay_alu instid0(VALU_DEP_1) | instid1(SALU_CYCLE_1)
	s_or_b32 vcc_lo, s3, s2
	v_dual_cndmask_b32 v7, v7, v5 :: v_dual_cndmask_b32 v8, v8, v2
	s_delay_alu instid0(VALU_DEP_1) | instskip(NEXT) | instid1(VALU_DEP_2)
	v_mov_b32_dpp v10, v7 quad_perm:[2,3,0,1] row_mask:0xf bank_mask:0xf
	v_mov_b32_dpp v11, v8 quad_perm:[2,3,0,1] row_mask:0xf bank_mask:0xf
	s_delay_alu instid0(VALU_DEP_2) | instskip(NEXT) | instid1(VALU_DEP_2)
	v_cmp_eq_f32_e32 vcc_lo, v7, v10
	v_cmp_lt_i32_e64 s2, v8, v11
	s_delay_alu instid0(VALU_DEP_1) | instskip(SKIP_2) | instid1(VALU_DEP_2)
	s_and_b32 vcc_lo, vcc_lo, s2
	v_cmp_lt_f32_e64 s2, v7, v10
	v_cndmask_b32_e32 v12, v10, v7, vcc_lo
	s_or_b32 vcc_lo, s2, vcc_lo
	s_delay_alu instid0(VALU_DEP_1) | instskip(SKIP_1) | instid1(VALU_DEP_2)
	v_cndmask_b32_e64 v7, v12, v7, s2
	v_cndmask_b32_e32 v10, v11, v8, vcc_lo
	v_mov_b32_dpp v8, v7 row_half_mirror row_mask:0xf bank_mask:0xf
	s_delay_alu instid0(VALU_DEP_2) | instskip(NEXT) | instid1(VALU_DEP_2)
	v_mov_b32_dpp v11, v10 row_half_mirror row_mask:0xf bank_mask:0xf
	v_cmp_eq_f32_e32 vcc_lo, v7, v8
	s_delay_alu instid0(VALU_DEP_2) | instskip(NEXT) | instid1(VALU_DEP_1)
	v_cmp_lt_i32_e64 s2, v10, v11
	s_and_b32 vcc_lo, vcc_lo, s2
	v_cmp_lt_f32_e64 s2, v7, v8
	v_cndmask_b32_e32 v12, v8, v7, vcc_lo
	s_delay_alu instid0(VALU_DEP_2) | instskip(NEXT) | instid1(VALU_DEP_1)
	s_or_b32 vcc_lo, s2, vcc_lo
	v_cndmask_b32_e64 v8, v12, v7, s2
	v_cndmask_b32_e32 v7, v11, v10, vcc_lo
	s_mov_b32 s2, exec_lo
	s_delay_alu instid0(VALU_DEP_2) | instskip(NEXT) | instid1(VALU_DEP_2)
	v_mov_b32_dpp v11, v8 row_mirror row_mask:0xf bank_mask:0xf
	v_mov_b32_dpp v10, v7 row_mirror row_mask:0xf bank_mask:0xf
	s_delay_alu instid0(VALU_DEP_2)
	v_cmpx_nlt_f32_e32 v8, v11
; %bb.95:                               ;   in Loop: Header=BB19_82 Depth=1
	s_delay_alu instid0(VALU_DEP_2) | instskip(SKIP_1) | instid1(VALU_DEP_2)
	v_min_i32_e32 v7, v7, v10
	v_cmp_eq_f32_e32 vcc_lo, v8, v11
	v_cndmask_b32_e32 v7, v10, v7, vcc_lo
; %bb.96:                               ;   in Loop: Header=BB19_82 Depth=1
	s_or_b32 exec_lo, exec_lo, s2
.LBB19_97:                              ;   in Loop: Header=BB19_82 Depth=1
	s_cbranch_execnz .LBB19_102
.LBB19_98:                              ;   in Loop: Header=BB19_82 Depth=1
	v_mov_b32_e32 v7, v2
	s_cmp_eq_u32 s28, 8
	s_cbranch_scc0 .LBB19_102
; %bb.99:                               ;   in Loop: Header=BB19_82 Depth=1
	s_delay_alu instid0(VALU_DEP_1) | instskip(SKIP_1) | instid1(VALU_DEP_2)
	v_mov_b32_dpp v7, v5 quad_perm:[1,0,3,2] row_mask:0xf bank_mask:0xf
	v_mov_b32_dpp v8, v2 quad_perm:[1,0,3,2] row_mask:0xf bank_mask:0xf
	v_cmp_eq_f32_e32 vcc_lo, v5, v7
	s_delay_alu instid0(VALU_DEP_2) | instskip(SKIP_1) | instid1(VALU_DEP_2)
	v_cmp_lt_i32_e64 s2, v2, v8
	v_cmp_lt_f32_e64 s3, v5, v7
	s_and_b32 s2, vcc_lo, s2
	s_delay_alu instid0(VALU_DEP_1) | instid1(SALU_CYCLE_1)
	s_or_b32 vcc_lo, s3, s2
	v_dual_cndmask_b32 v7, v7, v5 :: v_dual_cndmask_b32 v10, v8, v2
	s_delay_alu instid0(VALU_DEP_1) | instskip(NEXT) | instid1(VALU_DEP_2)
	v_mov_b32_dpp v8, v7 quad_perm:[2,3,0,1] row_mask:0xf bank_mask:0xf
	v_mov_b32_dpp v11, v10 quad_perm:[2,3,0,1] row_mask:0xf bank_mask:0xf
	s_delay_alu instid0(VALU_DEP_2) | instskip(NEXT) | instid1(VALU_DEP_2)
	v_cmp_eq_f32_e32 vcc_lo, v7, v8
	v_cmp_lt_i32_e64 s2, v10, v11
	s_delay_alu instid0(VALU_DEP_1) | instskip(SKIP_2) | instid1(VALU_DEP_2)
	s_and_b32 vcc_lo, vcc_lo, s2
	v_cmp_lt_f32_e64 s2, v7, v8
	v_cndmask_b32_e32 v12, v8, v7, vcc_lo
	s_or_b32 vcc_lo, s2, vcc_lo
	s_delay_alu instid0(VALU_DEP_1) | instskip(SKIP_2) | instid1(VALU_DEP_2)
	v_cndmask_b32_e64 v8, v12, v7, s2
	v_cndmask_b32_e32 v7, v11, v10, vcc_lo
	s_mov_b32 s2, exec_lo
	v_mov_b32_dpp v11, v8 row_half_mirror row_mask:0xf bank_mask:0xf
	s_delay_alu instid0(VALU_DEP_2) | instskip(NEXT) | instid1(VALU_DEP_2)
	v_mov_b32_dpp v10, v7 row_half_mirror row_mask:0xf bank_mask:0xf
	v_cmpx_nlt_f32_e32 v8, v11
; %bb.100:                              ;   in Loop: Header=BB19_82 Depth=1
	s_delay_alu instid0(VALU_DEP_2) | instskip(SKIP_1) | instid1(VALU_DEP_2)
	v_min_i32_e32 v7, v7, v10
	v_cmp_eq_f32_e32 vcc_lo, v8, v11
	v_cndmask_b32_e32 v7, v10, v7, vcc_lo
; %bb.101:                              ;   in Loop: Header=BB19_82 Depth=1
	s_or_b32 exec_lo, exec_lo, s2
.LBB19_102:                             ;   in Loop: Header=BB19_82 Depth=1
	s_cbranch_execnz .LBB19_81
.LBB19_103:                             ;   in Loop: Header=BB19_82 Depth=1
	s_cmp_lt_i32 s28, 4
	s_cbranch_scc1 .LBB19_109
; %bb.104:                              ;   in Loop: Header=BB19_82 Depth=1
	v_mov_b32_e32 v7, v2
	s_cmp_eq_u32 s28, 4
	s_cbranch_scc0 .LBB19_108
; %bb.105:                              ;   in Loop: Header=BB19_82 Depth=1
	s_delay_alu instid0(VALU_DEP_1) | instskip(SKIP_1) | instid1(VALU_DEP_2)
	v_mov_b32_dpp v7, v5 quad_perm:[1,0,3,2] row_mask:0xf bank_mask:0xf
	v_mov_b32_dpp v10, v2 quad_perm:[1,0,3,2] row_mask:0xf bank_mask:0xf
	v_cmp_eq_f32_e32 vcc_lo, v5, v7
	s_delay_alu instid0(VALU_DEP_2) | instskip(SKIP_1) | instid1(VALU_DEP_2)
	v_cmp_lt_i32_e64 s2, v2, v10
	v_cmp_lt_f32_e64 s3, v5, v7
	s_and_b32 s2, vcc_lo, s2
	s_delay_alu instid0(VALU_DEP_1) | instid1(SALU_CYCLE_1)
	s_or_b32 vcc_lo, s3, s2
	s_mov_b32 s2, exec_lo
	v_dual_cndmask_b32 v8, v7, v5 :: v_dual_cndmask_b32 v7, v10, v2
	s_delay_alu instid0(VALU_DEP_1) | instskip(NEXT) | instid1(VALU_DEP_2)
	v_mov_b32_dpp v11, v8 quad_perm:[2,3,0,1] row_mask:0xf bank_mask:0xf
	v_mov_b32_dpp v10, v7 quad_perm:[2,3,0,1] row_mask:0xf bank_mask:0xf
	s_delay_alu instid0(VALU_DEP_2)
	v_cmpx_nlt_f32_e32 v8, v11
; %bb.106:                              ;   in Loop: Header=BB19_82 Depth=1
	s_delay_alu instid0(VALU_DEP_2) | instskip(SKIP_1) | instid1(VALU_DEP_2)
	v_min_i32_e32 v7, v7, v10
	v_cmp_eq_f32_e32 vcc_lo, v8, v11
	v_cndmask_b32_e32 v7, v10, v7, vcc_lo
; %bb.107:                              ;   in Loop: Header=BB19_82 Depth=1
	s_or_b32 exec_lo, exec_lo, s2
.LBB19_108:                             ;   in Loop: Header=BB19_82 Depth=1
	s_cbranch_execnz .LBB19_81
	s_branch .LBB19_110
.LBB19_109:                             ;   in Loop: Header=BB19_82 Depth=1
                                        ; implicit-def: $vgpr7
.LBB19_110:                             ;   in Loop: Header=BB19_82 Depth=1
	v_mov_b32_e32 v7, v2
	s_cmp_lg_u32 s28, 2
	s_cbranch_scc1 .LBB19_81
; %bb.111:                              ;   in Loop: Header=BB19_82 Depth=1
	v_mov_b32_dpp v10, v5 quad_perm:[1,0,3,2] row_mask:0xf bank_mask:0xf
	v_mov_b32_dpp v8, v2 quad_perm:[1,0,3,2] row_mask:0xf bank_mask:0xf
	v_mov_b32_e32 v7, v2
	s_mov_b32 s2, exec_lo
	s_delay_alu instid0(VALU_DEP_3)
	v_cmpx_nlt_f32_e32 v5, v10
	s_cbranch_execz .LBB19_80
; %bb.112:                              ;   in Loop: Header=BB19_82 Depth=1
	v_min_i32_e32 v7, v2, v8
	v_cmp_eq_f32_e32 vcc_lo, v5, v10
	s_delay_alu instid0(VALU_DEP_2)
	v_cndmask_b32_e32 v7, v8, v7, vcc_lo
	s_branch .LBB19_80
.LBB19_113:
	s_clause 0x2
	s_load_b128 s[4:7], s[0:1], 0x40
	s_load_b64 s[10:11], s[0:1], 0x50
	s_load_b32 s15, s[0:1], 0x58
	s_cmp_lg_u32 0, -1
	s_mov_b64 s[0:1], src_shared_base
	s_cselect_b32 s0, 0, 0
	v_ashrrev_i32_e32 v7, 31, v4
	s_cselect_b32 s1, s1, 0
	s_add_u32 s0, s0, 0xff
	s_addc_u32 s1, s1, 0
	s_and_b32 s0, s0, 0xffffff00
	s_waitcnt vmcnt(0)
	scratch_store_b32 off, v3, off offset:128
	s_waitcnt lgkmcnt(0)
	v_alignbit_b32 v8, s5, s4, 30
	s_lshl_b32 s2, s4, 2
	s_sub_u32 s12, s4, s6
	v_mad_u64_u32 v[5:6], null, s2, v4, s[0:1]
	v_mul_lo_u32 v7, s2, v7
	s_subb_u32 s13, s5, s7
	v_mul_lo_u32 v4, v8, v4
	v_cmp_lt_i64_e64 s0, s[12:13], 1
	s_delay_alu instid0(VALU_DEP_1) | instskip(NEXT) | instid1(VALU_DEP_2)
	s_and_b32 vcc_lo, exec_lo, s0
	v_add3_u32 v8, v4, v6, v7
	v_cmp_eq_u32_e64 s0, 0, v9
	s_cbranch_vccnz .LBB19_188
; %bb.114:
	s_cmp_lt_i32 s8, 2
	s_mov_b32 s33, 0x76543210
	s_cselect_b32 s3, -1, 0
	s_add_i32 s2, s8, -1
	s_add_i32 s9, s8, -2
	s_ashr_i32 s1, s15, 31
	s_and_b32 s16, s2, 7
	s_cmp_gt_u32 s9, 6
	s_cselect_b32 s17, -1, 0
	s_and_b32 s18, s2, -8
	s_cmp_lg_u32 s16, 0
	s_cselect_b32 s19, -1, 0
	s_and_b32 s24, s8, 7
	s_cmp_gt_u32 s8, 7
	s_cselect_b32 s25, -1, 0
	s_and_b32 s27, s8, 0x7ffffff8
	s_cmp_lg_u32 s24, 0
	s_cselect_b32 s29, -1, 0
	s_abs_i32 s30, s8
	s_ashr_i32 s31, s8, 31
	v_cvt_f32_u32_e32 v3, s30
	s_mov_b64 s[8:9], 0
	s_delay_alu instid0(VALU_DEP_1)
	v_rcp_iflag_f32_e32 v6, v3
	v_mad_u64_u32 v[3:4], null, v0, s15, 0
	s_waitcnt_depctr 0xfff
	v_mul_f32_e32 v10, 0x4f7ffffe, v6
	v_mad_u64_u32 v[6:7], null, v0, s1, v[4:5]
	s_sub_i32 s1, 0, s30
	s_delay_alu instid0(VALU_DEP_2) | instskip(SKIP_1) | instid1(VALU_DEP_3)
	v_cvt_u32_f32_e32 v12, v10
	v_mov_b32_e32 v10, 0
	v_mov_b32_e32 v4, v6
	s_delay_alu instid0(VALU_DEP_3) | instskip(SKIP_1) | instid1(VALU_DEP_2)
	v_mul_lo_u32 v7, s1, v12
	v_add_nc_u32_e64 v6, 0x80, 32
	v_mul_hi_u32 v13, v12, v7
	s_delay_alu instid0(VALU_DEP_1) | instskip(SKIP_1) | instid1(VALU_DEP_1)
	v_dual_mov_b32 v13, 0xff7fffff :: v_dual_add_nc_u32 v12, v12, v13
	v_lshlrev_b64 v[3:4], 2, v[3:4]
	v_add_co_u32 v7, vcc_lo, s22, v3
	s_delay_alu instid0(VALU_DEP_2)
	v_add_co_ci_u32_e32 v11, vcc_lo, s23, v4, vcc_lo
	s_branch .LBB19_116
.LBB19_115:                             ;   in Loop: Header=BB19_116 Depth=1
	s_or_b32 exec_lo, exec_lo, s1
	s_add_u32 s8, s8, 1
	s_addc_u32 s9, s9, 0
	s_delay_alu instid0(SALU_CYCLE_1) | instskip(NEXT) | instid1(VALU_DEP_1)
	v_cmp_le_i64_e64 s1, s[12:13], s[8:9]
	s_and_b32 vcc_lo, exec_lo, s1
	s_cbranch_vccnz .LBB19_189
.LBB19_116:                             ; =>This Loop Header: Depth=1
                                        ;     Child Loop BB19_119 Depth 2
                                        ;     Child Loop BB19_123 Depth 2
                                        ;     Child Loop BB19_163 Depth 2
                                        ;     Child Loop BB19_183 Depth 2
	scratch_load_b32 v14, off, off offset:128
	v_mov_b32_e32 v3, v2
	s_waitcnt vmcnt(0)
	v_cmp_eq_f32_e32 vcc_lo, 0x7f7fffff, v14
	v_cndmask_b32_e64 v4, v14, 0xff7fffff, vcc_lo
	s_or_b32 s1, s3, vcc_lo
	s_delay_alu instid0(SALU_CYCLE_1) | instskip(NEXT) | instid1(SALU_CYCLE_1)
	s_xor_b32 s2, s1, -1
	s_and_saveexec_b32 s1, s2
	s_cbranch_execz .LBB19_125
; %bb.117:                              ;   in Loop: Header=BB19_116 Depth=1
	s_and_not1_b32 vcc_lo, exec_lo, s17
	s_mov_b32 s2, 1
	s_cbranch_vccnz .LBB19_121
; %bb.118:                              ;   in Loop: Header=BB19_116 Depth=1
	v_mov_b32_e32 v4, v6
	v_mov_b32_e32 v3, v2
	s_mov_b32 s34, 0
	s_set_inst_prefetch_distance 0x1
	.p2align	6
.LBB19_119:                             ;   Parent Loop BB19_116 Depth=1
                                        ; =>  This Inner Loop Header: Depth=2
	s_clause 0x1
	scratch_load_b128 v[15:18], v4, off offset:-28
	scratch_load_b128 v[19:22], v4, off offset:-12
	s_mov_b32 s2, s34
	s_add_i32 s34, s34, 8
	s_delay_alu instid0(SALU_CYCLE_1) | instskip(SKIP_3) | instid1(VALU_DEP_1)
	s_cmp_lg_u32 s18, s34
	s_waitcnt vmcnt(1)
	v_cmp_gt_f32_e32 vcc_lo, v15, v14
	v_dual_cndmask_b32 v14, v14, v15 :: v_dual_add_nc_u32 v23, s2, v2
	v_add_nc_u32_e32 v25, 2, v23
	v_add_nc_u32_e32 v24, 1, v23
	s_delay_alu instid0(VALU_DEP_1) | instskip(NEXT) | instid1(VALU_DEP_4)
	v_dual_cndmask_b32 v3, v3, v24 :: v_dual_add_nc_u32 v26, 3, v23
	v_cmp_gt_f32_e32 vcc_lo, v16, v14
	s_delay_alu instid0(VALU_DEP_2) | instskip(SKIP_1) | instid1(VALU_DEP_2)
	v_dual_cndmask_b32 v14, v14, v16 :: v_dual_cndmask_b32 v3, v3, v25
	v_add_nc_u32_e32 v16, 7, v23
	v_cmp_gt_f32_e32 vcc_lo, v17, v14
	v_add_nc_u32_e32 v27, 4, v23
	s_delay_alu instid0(VALU_DEP_4) | instskip(SKIP_1) | instid1(VALU_DEP_1)
	v_dual_cndmask_b32 v3, v3, v26 :: v_dual_add_nc_u32 v28, 5, v23
	v_cndmask_b32_e32 v14, v14, v17, vcc_lo
	v_cmp_gt_f32_e32 vcc_lo, v18, v14
	s_delay_alu instid0(VALU_DEP_3) | instskip(SKIP_1) | instid1(VALU_DEP_1)
	v_dual_cndmask_b32 v14, v14, v18 :: v_dual_cndmask_b32 v3, v3, v27
	s_waitcnt vmcnt(0)
	v_cmp_gt_f32_e32 vcc_lo, v19, v14
	s_delay_alu instid0(VALU_DEP_2) | instskip(NEXT) | instid1(VALU_DEP_1)
	v_dual_cndmask_b32 v14, v14, v19 :: v_dual_cndmask_b32 v3, v3, v28
	v_cmp_gt_f32_e32 vcc_lo, v20, v14
	v_dual_cndmask_b32 v14, v14, v20 :: v_dual_add_nc_u32 v15, 6, v23
	s_delay_alu instid0(VALU_DEP_1) | instskip(NEXT) | instid1(VALU_DEP_2)
	v_cndmask_b32_e32 v3, v3, v15, vcc_lo
	v_cmp_gt_f32_e32 vcc_lo, v21, v14
	s_delay_alu instid0(VALU_DEP_2) | instskip(NEXT) | instid1(VALU_DEP_1)
	v_dual_cndmask_b32 v14, v14, v21 :: v_dual_cndmask_b32 v3, v3, v16
	v_cmp_gt_f32_e32 vcc_lo, v22, v14
	v_dual_cndmask_b32 v14, v14, v22 :: v_dual_add_nc_u32 v15, 8, v23
	s_delay_alu instid0(VALU_DEP_1)
	v_dual_cndmask_b32 v3, v3, v15 :: v_dual_add_nc_u32 v4, 32, v4
	s_cbranch_scc1 .LBB19_119
; %bb.120:                              ;   in Loop: Header=BB19_116 Depth=1
	s_set_inst_prefetch_distance 0x2
	s_add_i32 s2, s2, 9
	s_and_not1_b32 vcc_lo, exec_lo, s19
	s_cbranch_vccz .LBB19_122
	s_branch .LBB19_124
.LBB19_121:                             ;   in Loop: Header=BB19_116 Depth=1
	v_mov_b32_e32 v3, v2
	s_and_not1_b32 vcc_lo, exec_lo, s19
	s_cbranch_vccnz .LBB19_124
.LBB19_122:                             ;   in Loop: Header=BB19_116 Depth=1
	s_lshl_b32 s34, s2, 2
	v_add_nc_u32_e32 v4, s2, v2
	v_add_nc_u32_e64 v15, 0x80, s34
	s_mov_b32 s2, s16
.LBB19_123:                             ;   Parent Loop BB19_116 Depth=1
                                        ; =>  This Inner Loop Header: Depth=2
	scratch_load_b32 v16, v15, off
	s_add_i32 s2, s2, -1
	s_delay_alu instid0(SALU_CYCLE_1)
	s_cmp_lg_u32 s2, 0
	s_waitcnt vmcnt(0)
	v_cmp_gt_f32_e32 vcc_lo, v16, v14
	v_dual_cndmask_b32 v14, v14, v16 :: v_dual_add_nc_u32 v15, 4, v15
	v_cndmask_b32_e32 v3, v3, v4, vcc_lo
	v_add_nc_u32_e32 v4, 1, v4
	s_cbranch_scc1 .LBB19_123
.LBB19_124:                             ;   in Loop: Header=BB19_116 Depth=1
	s_delay_alu instid0(VALU_DEP_3)
	v_mov_b32_e32 v4, v14
.LBB19_125:                             ;   in Loop: Header=BB19_116 Depth=1
	s_or_b32 exec_lo, exec_lo, s1
	s_cmp_lt_i32 s28, 8
	s_cbranch_scc1 .LBB19_133
; %bb.126:                              ;   in Loop: Header=BB19_116 Depth=1
	s_cmp_lt_i32 s28, 16
	s_cbranch_scc1 .LBB19_134
; %bb.127:                              ;   in Loop: Header=BB19_116 Depth=1
	;; [unrolled: 3-line block ×3, first 2 shown]
	v_mov_b32_e32 v14, v3
	s_cmp_eq_u32 s28, 32
	s_cbranch_scc0 .LBB19_132
; %bb.129:                              ;   in Loop: Header=BB19_116 Depth=1
	s_delay_alu instid0(VALU_DEP_1) | instskip(SKIP_1) | instid1(VALU_DEP_2)
	v_mov_b32_dpp v14, v4 quad_perm:[1,0,3,2] row_mask:0xf bank_mask:0xf
	v_mov_b32_dpp v15, v3 quad_perm:[1,0,3,2] row_mask:0xf bank_mask:0xf
	v_cmp_eq_f32_e32 vcc_lo, v4, v14
	s_delay_alu instid0(VALU_DEP_2) | instskip(SKIP_1) | instid1(VALU_DEP_2)
	v_cmp_lt_i32_e64 s1, v3, v15
	v_cmp_gt_f32_e64 s2, v4, v14
	s_and_b32 s1, vcc_lo, s1
	s_delay_alu instid0(VALU_DEP_1) | instid1(SALU_CYCLE_1)
	s_or_b32 vcc_lo, s2, s1
	v_dual_cndmask_b32 v14, v14, v4 :: v_dual_cndmask_b32 v15, v15, v3
	s_delay_alu instid0(VALU_DEP_1) | instskip(NEXT) | instid1(VALU_DEP_2)
	v_mov_b32_dpp v16, v14 quad_perm:[2,3,0,1] row_mask:0xf bank_mask:0xf
	v_mov_b32_dpp v17, v15 quad_perm:[2,3,0,1] row_mask:0xf bank_mask:0xf
	s_delay_alu instid0(VALU_DEP_2) | instskip(NEXT) | instid1(VALU_DEP_2)
	v_cmp_eq_f32_e32 vcc_lo, v14, v16
	v_cmp_lt_i32_e64 s1, v15, v17
	s_delay_alu instid0(VALU_DEP_1) | instskip(SKIP_2) | instid1(VALU_DEP_2)
	s_and_b32 vcc_lo, vcc_lo, s1
	v_cmp_gt_f32_e64 s1, v14, v16
	v_cndmask_b32_e32 v18, v16, v14, vcc_lo
	s_or_b32 vcc_lo, s1, vcc_lo
	v_cndmask_b32_e32 v15, v17, v15, vcc_lo
	s_delay_alu instid0(VALU_DEP_2) | instskip(NEXT) | instid1(VALU_DEP_2)
	v_cndmask_b32_e64 v14, v18, v14, s1
	v_mov_b32_dpp v17, v15 row_xmask:7 row_mask:0xf bank_mask:0xf
	s_delay_alu instid0(VALU_DEP_2) | instskip(NEXT) | instid1(VALU_DEP_2)
	v_mov_b32_dpp v16, v14 row_xmask:7 row_mask:0xf bank_mask:0xf
	v_cmp_lt_i32_e64 s1, v15, v17
	s_delay_alu instid0(VALU_DEP_2) | instskip(NEXT) | instid1(VALU_DEP_2)
	v_cmp_eq_f32_e32 vcc_lo, v14, v16
	s_and_b32 vcc_lo, vcc_lo, s1
	v_cmp_gt_f32_e64 s1, v14, v16
	v_cndmask_b32_e32 v18, v16, v14, vcc_lo
	s_delay_alu instid0(VALU_DEP_2) | instskip(SKIP_1) | instid1(VALU_DEP_2)
	s_or_b32 vcc_lo, s1, vcc_lo
	v_cndmask_b32_e32 v17, v17, v15, vcc_lo
	v_cndmask_b32_e64 v14, v18, v14, s1
	s_delay_alu instid0(VALU_DEP_2) | instskip(NEXT) | instid1(VALU_DEP_2)
	v_mov_b32_dpp v18, v17 row_xmask:15 row_mask:0xf bank_mask:0xf
	v_mov_b32_dpp v15, v14 row_xmask:15 row_mask:0xf bank_mask:0xf
	s_delay_alu instid0(VALU_DEP_2) | instskip(NEXT) | instid1(VALU_DEP_2)
	v_cmp_lt_i32_e64 s1, v17, v18
	v_cmp_eq_f32_e32 vcc_lo, v14, v15
	s_delay_alu instid0(VALU_DEP_2) | instskip(SKIP_2) | instid1(VALU_DEP_2)
	s_and_b32 vcc_lo, vcc_lo, s1
	v_cmp_gt_f32_e64 s1, v14, v15
	v_cndmask_b32_e32 v16, v15, v14, vcc_lo
	s_or_b32 vcc_lo, s1, vcc_lo
	s_delay_alu instid0(VALU_DEP_1) | instskip(SKIP_2) | instid1(VALU_DEP_2)
	v_cndmask_b32_e64 v15, v16, v14, s1
	v_cndmask_b32_e32 v14, v18, v17, vcc_lo
	s_mov_b32 s1, exec_lo
	v_permlanex16_b32 v16, v15, s33, 0xfedcba98 op_sel:[1,1]
	s_delay_alu instid0(VALU_DEP_1)
	v_cmpx_ngt_f32_e32 v15, v16
; %bb.130:                              ;   in Loop: Header=BB19_116 Depth=1
	s_delay_alu instid0(VALU_DEP_3) | instskip(NEXT) | instid1(VALU_DEP_1)
	v_mov_b32_e32 v14, v14
	v_permlanex16_b32 v17, v14, s33, 0xfedcba98 op_sel:[1,1]
	v_cmp_eq_f32_e32 vcc_lo, v15, v16
	s_delay_alu instid0(VALU_DEP_2) | instskip(NEXT) | instid1(VALU_DEP_1)
	v_min_i32_e32 v14, v14, v17
	v_cndmask_b32_e32 v14, v17, v14, vcc_lo
; %bb.131:                              ;   in Loop: Header=BB19_116 Depth=1
	s_or_b32 exec_lo, exec_lo, s1
.LBB19_132:                             ;   in Loop: Header=BB19_116 Depth=1
	s_cbranch_execz .LBB19_136
	s_branch .LBB19_140
.LBB19_133:                             ;   in Loop: Header=BB19_116 Depth=1
                                        ; implicit-def: $vgpr14
	s_branch .LBB19_146
.LBB19_134:                             ;   in Loop: Header=BB19_116 Depth=1
                                        ; implicit-def: $vgpr14
	s_branch .LBB19_141
.LBB19_135:                             ;   in Loop: Header=BB19_116 Depth=1
                                        ; implicit-def: $vgpr14
.LBB19_136:                             ;   in Loop: Header=BB19_116 Depth=1
	v_mov_b32_e32 v14, v3
	s_cmp_eq_u32 s28, 16
	s_cbranch_scc0 .LBB19_140
; %bb.137:                              ;   in Loop: Header=BB19_116 Depth=1
	s_delay_alu instid0(VALU_DEP_1) | instskip(SKIP_1) | instid1(VALU_DEP_2)
	v_mov_b32_dpp v14, v4 quad_perm:[1,0,3,2] row_mask:0xf bank_mask:0xf
	v_mov_b32_dpp v15, v3 quad_perm:[1,0,3,2] row_mask:0xf bank_mask:0xf
	v_cmp_eq_f32_e32 vcc_lo, v4, v14
	s_delay_alu instid0(VALU_DEP_2) | instskip(SKIP_1) | instid1(VALU_DEP_2)
	v_cmp_lt_i32_e64 s1, v3, v15
	v_cmp_gt_f32_e64 s2, v4, v14
	s_and_b32 s1, vcc_lo, s1
	s_delay_alu instid0(VALU_DEP_1) | instid1(SALU_CYCLE_1)
	s_or_b32 vcc_lo, s2, s1
	v_dual_cndmask_b32 v14, v14, v4 :: v_dual_cndmask_b32 v15, v15, v3
	s_delay_alu instid0(VALU_DEP_1) | instskip(NEXT) | instid1(VALU_DEP_2)
	v_mov_b32_dpp v16, v14 quad_perm:[2,3,0,1] row_mask:0xf bank_mask:0xf
	v_mov_b32_dpp v17, v15 quad_perm:[2,3,0,1] row_mask:0xf bank_mask:0xf
	s_delay_alu instid0(VALU_DEP_2) | instskip(NEXT) | instid1(VALU_DEP_2)
	v_cmp_eq_f32_e32 vcc_lo, v14, v16
	v_cmp_lt_i32_e64 s1, v15, v17
	s_delay_alu instid0(VALU_DEP_1) | instskip(SKIP_2) | instid1(VALU_DEP_2)
	s_and_b32 vcc_lo, vcc_lo, s1
	v_cmp_gt_f32_e64 s1, v14, v16
	v_cndmask_b32_e32 v18, v16, v14, vcc_lo
	s_or_b32 vcc_lo, s1, vcc_lo
	s_delay_alu instid0(VALU_DEP_1) | instskip(SKIP_1) | instid1(VALU_DEP_2)
	v_cndmask_b32_e64 v14, v18, v14, s1
	v_cndmask_b32_e32 v16, v17, v15, vcc_lo
	v_mov_b32_dpp v15, v14 row_half_mirror row_mask:0xf bank_mask:0xf
	s_delay_alu instid0(VALU_DEP_2) | instskip(NEXT) | instid1(VALU_DEP_2)
	v_mov_b32_dpp v17, v16 row_half_mirror row_mask:0xf bank_mask:0xf
	v_cmp_eq_f32_e32 vcc_lo, v14, v15
	s_delay_alu instid0(VALU_DEP_2) | instskip(NEXT) | instid1(VALU_DEP_1)
	v_cmp_lt_i32_e64 s1, v16, v17
	s_and_b32 vcc_lo, vcc_lo, s1
	v_cmp_gt_f32_e64 s1, v14, v15
	v_cndmask_b32_e32 v18, v15, v14, vcc_lo
	s_delay_alu instid0(VALU_DEP_2) | instskip(NEXT) | instid1(VALU_DEP_1)
	s_or_b32 vcc_lo, s1, vcc_lo
	v_cndmask_b32_e64 v15, v18, v14, s1
	v_cndmask_b32_e32 v14, v17, v16, vcc_lo
	s_mov_b32 s1, exec_lo
	s_delay_alu instid0(VALU_DEP_2) | instskip(NEXT) | instid1(VALU_DEP_2)
	v_mov_b32_dpp v17, v15 row_mirror row_mask:0xf bank_mask:0xf
	v_mov_b32_dpp v16, v14 row_mirror row_mask:0xf bank_mask:0xf
	s_delay_alu instid0(VALU_DEP_2)
	v_cmpx_ngt_f32_e32 v15, v17
; %bb.138:                              ;   in Loop: Header=BB19_116 Depth=1
	s_delay_alu instid0(VALU_DEP_2) | instskip(SKIP_1) | instid1(VALU_DEP_2)
	v_min_i32_e32 v14, v14, v16
	v_cmp_eq_f32_e32 vcc_lo, v15, v17
	v_cndmask_b32_e32 v14, v16, v14, vcc_lo
; %bb.139:                              ;   in Loop: Header=BB19_116 Depth=1
	s_or_b32 exec_lo, exec_lo, s1
.LBB19_140:                             ;   in Loop: Header=BB19_116 Depth=1
	s_cbranch_execnz .LBB19_145
.LBB19_141:                             ;   in Loop: Header=BB19_116 Depth=1
	v_mov_b32_e32 v14, v3
	s_cmp_eq_u32 s28, 8
	s_cbranch_scc0 .LBB19_145
; %bb.142:                              ;   in Loop: Header=BB19_116 Depth=1
	s_delay_alu instid0(VALU_DEP_1) | instskip(SKIP_1) | instid1(VALU_DEP_2)
	v_mov_b32_dpp v14, v4 quad_perm:[1,0,3,2] row_mask:0xf bank_mask:0xf
	v_mov_b32_dpp v15, v3 quad_perm:[1,0,3,2] row_mask:0xf bank_mask:0xf
	v_cmp_eq_f32_e32 vcc_lo, v4, v14
	s_delay_alu instid0(VALU_DEP_2) | instskip(SKIP_1) | instid1(VALU_DEP_2)
	v_cmp_lt_i32_e64 s1, v3, v15
	v_cmp_gt_f32_e64 s2, v4, v14
	s_and_b32 s1, vcc_lo, s1
	s_delay_alu instid0(VALU_DEP_1) | instid1(SALU_CYCLE_1)
	s_or_b32 vcc_lo, s2, s1
	v_cndmask_b32_e32 v14, v14, v4, vcc_lo
	v_cndmask_b32_e32 v16, v15, v3, vcc_lo
	s_delay_alu instid0(VALU_DEP_2) | instskip(NEXT) | instid1(VALU_DEP_2)
	v_mov_b32_dpp v15, v14 quad_perm:[2,3,0,1] row_mask:0xf bank_mask:0xf
	v_mov_b32_dpp v17, v16 quad_perm:[2,3,0,1] row_mask:0xf bank_mask:0xf
	s_delay_alu instid0(VALU_DEP_2) | instskip(NEXT) | instid1(VALU_DEP_2)
	v_cmp_eq_f32_e32 vcc_lo, v14, v15
	v_cmp_lt_i32_e64 s1, v16, v17
	s_delay_alu instid0(VALU_DEP_1) | instskip(SKIP_2) | instid1(VALU_DEP_2)
	s_and_b32 vcc_lo, vcc_lo, s1
	v_cmp_gt_f32_e64 s1, v14, v15
	v_cndmask_b32_e32 v18, v15, v14, vcc_lo
	s_or_b32 vcc_lo, s1, vcc_lo
	s_delay_alu instid0(VALU_DEP_1) | instskip(SKIP_2) | instid1(VALU_DEP_2)
	v_cndmask_b32_e64 v15, v18, v14, s1
	v_cndmask_b32_e32 v14, v17, v16, vcc_lo
	s_mov_b32 s1, exec_lo
	v_mov_b32_dpp v17, v15 row_half_mirror row_mask:0xf bank_mask:0xf
	s_delay_alu instid0(VALU_DEP_2) | instskip(NEXT) | instid1(VALU_DEP_2)
	v_mov_b32_dpp v16, v14 row_half_mirror row_mask:0xf bank_mask:0xf
	v_cmpx_ngt_f32_e32 v15, v17
; %bb.143:                              ;   in Loop: Header=BB19_116 Depth=1
	s_delay_alu instid0(VALU_DEP_2) | instskip(SKIP_1) | instid1(VALU_DEP_2)
	v_min_i32_e32 v14, v14, v16
	v_cmp_eq_f32_e32 vcc_lo, v15, v17
	v_cndmask_b32_e32 v14, v16, v14, vcc_lo
; %bb.144:                              ;   in Loop: Header=BB19_116 Depth=1
	s_or_b32 exec_lo, exec_lo, s1
.LBB19_145:                             ;   in Loop: Header=BB19_116 Depth=1
	s_cbranch_execnz .LBB19_158
.LBB19_146:                             ;   in Loop: Header=BB19_116 Depth=1
	s_cmp_lt_i32 s28, 4
	s_cbranch_scc1 .LBB19_152
; %bb.147:                              ;   in Loop: Header=BB19_116 Depth=1
	v_mov_b32_e32 v14, v3
	s_cmp_eq_u32 s28, 4
	s_cbranch_scc0 .LBB19_151
; %bb.148:                              ;   in Loop: Header=BB19_116 Depth=1
	s_delay_alu instid0(VALU_DEP_1) | instskip(SKIP_1) | instid1(VALU_DEP_2)
	v_mov_b32_dpp v14, v4 quad_perm:[1,0,3,2] row_mask:0xf bank_mask:0xf
	v_mov_b32_dpp v16, v3 quad_perm:[1,0,3,2] row_mask:0xf bank_mask:0xf
	v_cmp_eq_f32_e32 vcc_lo, v4, v14
	s_delay_alu instid0(VALU_DEP_2) | instskip(SKIP_1) | instid1(VALU_DEP_2)
	v_cmp_lt_i32_e64 s1, v3, v16
	v_cmp_gt_f32_e64 s2, v4, v14
	s_and_b32 s1, vcc_lo, s1
	s_delay_alu instid0(VALU_DEP_1) | instid1(SALU_CYCLE_1)
	s_or_b32 vcc_lo, s2, s1
	s_mov_b32 s1, exec_lo
	v_dual_cndmask_b32 v15, v14, v4 :: v_dual_cndmask_b32 v14, v16, v3
	s_delay_alu instid0(VALU_DEP_1) | instskip(NEXT) | instid1(VALU_DEP_2)
	v_mov_b32_dpp v17, v15 quad_perm:[2,3,0,1] row_mask:0xf bank_mask:0xf
	v_mov_b32_dpp v16, v14 quad_perm:[2,3,0,1] row_mask:0xf bank_mask:0xf
	s_delay_alu instid0(VALU_DEP_2)
	v_cmpx_ngt_f32_e32 v15, v17
; %bb.149:                              ;   in Loop: Header=BB19_116 Depth=1
	s_delay_alu instid0(VALU_DEP_2) | instskip(SKIP_1) | instid1(VALU_DEP_2)
	v_min_i32_e32 v14, v14, v16
	v_cmp_eq_f32_e32 vcc_lo, v15, v17
	v_cndmask_b32_e32 v14, v16, v14, vcc_lo
; %bb.150:                              ;   in Loop: Header=BB19_116 Depth=1
	s_or_b32 exec_lo, exec_lo, s1
.LBB19_151:                             ;   in Loop: Header=BB19_116 Depth=1
	s_cbranch_execz .LBB19_153
	s_branch .LBB19_158
.LBB19_152:                             ;   in Loop: Header=BB19_116 Depth=1
                                        ; implicit-def: $vgpr14
.LBB19_153:                             ;   in Loop: Header=BB19_116 Depth=1
	s_cmp_lg_u32 s28, 2
	s_cbranch_scc1 .LBB19_157
; %bb.154:                              ;   in Loop: Header=BB19_116 Depth=1
	v_mov_b32_dpp v15, v4 quad_perm:[1,0,3,2] row_mask:0xf bank_mask:0xf
	v_mov_b32_dpp v14, v3 quad_perm:[1,0,3,2] row_mask:0xf bank_mask:0xf
	s_mov_b32 s1, exec_lo
	s_delay_alu instid0(VALU_DEP_2)
	v_cmpx_ngt_f32_e32 v4, v15
; %bb.155:                              ;   in Loop: Header=BB19_116 Depth=1
	s_delay_alu instid0(VALU_DEP_2) | instskip(SKIP_1) | instid1(VALU_DEP_2)
	v_min_i32_e32 v3, v3, v14
	v_cmp_eq_f32_e32 vcc_lo, v4, v15
	v_cndmask_b32_e32 v3, v14, v3, vcc_lo
; %bb.156:                              ;   in Loop: Header=BB19_116 Depth=1
	s_or_b32 exec_lo, exec_lo, s1
.LBB19_157:                             ;   in Loop: Header=BB19_116 Depth=1
	s_delay_alu instid0(VALU_DEP_1)
	v_mov_b32_e32 v14, v3
.LBB19_158:                             ;   in Loop: Header=BB19_116 Depth=1
	s_delay_alu instid0(VALU_DEP_1) | instskip(SKIP_1) | instid1(VALU_DEP_1)
	v_sub_nc_u32_e32 v3, 0, v14
	s_mov_b32 s1, exec_lo
	v_max_i32_e32 v3, v14, v3
	s_delay_alu instid0(VALU_DEP_1) | instskip(NEXT) | instid1(VALU_DEP_1)
	v_mul_hi_u32 v4, v3, v12
	v_mul_lo_u32 v15, v4, s30
	s_delay_alu instid0(VALU_DEP_1) | instskip(SKIP_1) | instid1(VALU_DEP_2)
	v_sub_nc_u32_e32 v3, v3, v15
	v_add_nc_u32_e32 v15, 1, v4
	v_subrev_nc_u32_e32 v16, s30, v3
	v_cmp_le_u32_e32 vcc_lo, s30, v3
	s_delay_alu instid0(VALU_DEP_2) | instskip(SKIP_1) | instid1(VALU_DEP_2)
	v_dual_cndmask_b32 v4, v4, v15 :: v_dual_cndmask_b32 v3, v3, v16
	v_ashrrev_i32_e32 v15, 31, v14
	v_add_nc_u32_e32 v16, 1, v4
	s_delay_alu instid0(VALU_DEP_3) | instskip(NEXT) | instid1(VALU_DEP_3)
	v_cmp_le_u32_e32 vcc_lo, s30, v3
	v_xor_b32_e32 v15, s31, v15
	s_delay_alu instid0(VALU_DEP_3) | instskip(NEXT) | instid1(VALU_DEP_1)
	v_cndmask_b32_e32 v3, v4, v16, vcc_lo
	v_xor_b32_e32 v3, v3, v15
	s_delay_alu instid0(VALU_DEP_1) | instskip(NEXT) | instid1(VALU_DEP_1)
	v_sub_nc_u32_e32 v3, v3, v15
	v_cmpx_eq_u32_e64 v9, v3
	s_cbranch_execz .LBB19_186
; %bb.159:                              ;   in Loop: Header=BB19_116 Depth=1
	s_and_not1_b32 vcc_lo, exec_lo, s14
	s_cbranch_vccnz .LBB19_185
; %bb.160:                              ;   in Loop: Header=BB19_116 Depth=1
	v_sub_nc_u32_e32 v17, v14, v2
	s_lshl_b64 s[34:35], s[8:9], 2
	s_mov_b32 s2, 0
	v_add_co_u32 v3, vcc_lo, v5, s34
	s_delay_alu instid0(VALU_DEP_2) | instskip(SKIP_2) | instid1(VALU_DEP_2)
	v_lshlrev_b32_e32 v16, 2, v17
	v_add_co_ci_u32_e32 v4, vcc_lo, s35, v8, vcc_lo
	s_and_not1_b32 vcc_lo, exec_lo, s25
	v_add_nc_u32_e32 v15, 0, v16
	v_add_nc_u32_e32 v16, 0x80, v16
	s_cbranch_vccnz .LBB19_180
; %bb.161:                              ;   in Loop: Header=BB19_116 Depth=1
	s_mov_b32 s34, 0
	s_branch .LBB19_163
.LBB19_162:                             ;   in Loop: Header=BB19_163 Depth=2
	s_or_b32 exec_lo, exec_lo, s35
	s_add_i32 s34, s34, 1
	s_delay_alu instid0(SALU_CYCLE_1)
	s_cmp_eq_u32 s34, s27
	s_cbranch_scc1 .LBB19_179
.LBB19_163:                             ;   Parent Loop BB19_116 Depth=1
                                        ; =>  This Inner Loop Header: Depth=2
	s_mov_b32 s2, s34
	s_mov_b32 s34, exec_lo
	v_cmpx_eq_u32_e64 s2, v17
	s_cbranch_execz .LBB19_165
; %bb.164:                              ;   in Loop: Header=BB19_163 Depth=2
	scratch_load_b32 v18, v15, off
	scratch_store_b32 v16, v13, off
	s_waitcnt vmcnt(0)
	flat_store_b32 v[3:4], v18
.LBB19_165:                             ;   in Loop: Header=BB19_163 Depth=2
	s_or_b32 exec_lo, exec_lo, s34
	s_add_i32 s34, s2, 1
	s_mov_b32 s35, exec_lo
	v_cmpx_eq_u32_e64 s34, v17
	s_cbranch_execz .LBB19_167
; %bb.166:                              ;   in Loop: Header=BB19_163 Depth=2
	scratch_load_b32 v18, v15, off
	scratch_store_b32 v16, v13, off
	s_waitcnt vmcnt(0)
	flat_store_b32 v[3:4], v18
.LBB19_167:                             ;   in Loop: Header=BB19_163 Depth=2
	s_or_b32 exec_lo, exec_lo, s35
	s_add_i32 s34, s34, 1
	;; [unrolled: 11-line block ×7, first 2 shown]
	s_mov_b32 s35, exec_lo
	v_cmpx_eq_u32_e64 s34, v17
	s_cbranch_execz .LBB19_162
; %bb.178:                              ;   in Loop: Header=BB19_163 Depth=2
	scratch_load_b32 v18, v15, off
	scratch_store_b32 v16, v13, off
	s_waitcnt vmcnt(0)
	flat_store_b32 v[3:4], v18
	s_branch .LBB19_162
.LBB19_179:                             ;   in Loop: Header=BB19_116 Depth=1
	s_add_i32 s2, s2, 8
.LBB19_180:                             ;   in Loop: Header=BB19_116 Depth=1
	s_and_not1_b32 vcc_lo, exec_lo, s29
	s_cbranch_vccnz .LBB19_185
; %bb.181:                              ;   in Loop: Header=BB19_116 Depth=1
	v_add_nc_u32_e32 v17, s2, v2
	s_mov_b32 s2, s24
	s_delay_alu instid0(VALU_DEP_1)
	v_sub_nc_u32_e32 v17, v17, v14
	s_branch .LBB19_183
.LBB19_182:                             ;   in Loop: Header=BB19_183 Depth=2
	s_or_b32 exec_lo, exec_lo, s34
	v_add_nc_u32_e32 v17, 1, v17
	s_add_i32 s2, s2, -1
	s_delay_alu instid0(SALU_CYCLE_1)
	s_cmp_lg_u32 s2, 0
	s_cbranch_scc0 .LBB19_185
.LBB19_183:                             ;   Parent Loop BB19_116 Depth=1
                                        ; =>  This Inner Loop Header: Depth=2
	s_mov_b32 s34, exec_lo
	s_delay_alu instid0(VALU_DEP_1)
	v_cmpx_eq_u32_e32 0, v17
	s_cbranch_execz .LBB19_182
; %bb.184:                              ;   in Loop: Header=BB19_183 Depth=2
	scratch_load_b32 v18, v15, off
	scratch_store_b32 v16, v13, off
	s_waitcnt vmcnt(0)
	flat_store_b32 v[3:4], v18
	s_branch .LBB19_182
.LBB19_185:                             ;   in Loop: Header=BB19_116 Depth=1
	s_lshl_b64 s[34:35], s[8:9], 2
	s_delay_alu instid0(SALU_CYCLE_1)
	v_add_co_u32 v3, vcc_lo, v7, s34
	v_add_co_ci_u32_e32 v4, vcc_lo, s35, v11, vcc_lo
	global_store_b32 v[3:4], v14, off
.LBB19_186:                             ;   in Loop: Header=BB19_116 Depth=1
	s_or_b32 exec_lo, exec_lo, s1
	s_waitcnt lgkmcnt(0)
	s_waitcnt_vscnt null, 0x0
	s_barrier
	buffer_gl0_inv
	s_and_saveexec_b32 s1, s0
	s_cbranch_execz .LBB19_115
; %bb.187:                              ;   in Loop: Header=BB19_116 Depth=1
	s_lshl_b64 s[34:35], s[8:9], 2
	s_delay_alu instid0(SALU_CYCLE_1)
	v_add_co_u32 v3, vcc_lo, v5, s34
	v_add_co_ci_u32_e32 v4, vcc_lo, s35, v8, vcc_lo
	flat_load_b32 v3, v[3:4]
	s_waitcnt vmcnt(0) lgkmcnt(0)
	v_add_f32_e32 v10, v10, v3
	s_branch .LBB19_115
.LBB19_188:
	v_mov_b32_e32 v10, 0
.LBB19_189:
	v_cmp_gt_i64_e64 s1, s[6:7], 0
	v_cmp_eq_u32_e64 s0, 0, v9
	s_delay_alu instid0(VALU_DEP_1) | instskip(NEXT) | instid1(SALU_CYCLE_1)
	s_and_b32 s1, s1, s0
	s_and_saveexec_b32 s8, s1
	s_cbranch_execz .LBB19_195
; %bb.190:
	v_cmp_le_u64_e32 vcc_lo, s[6:7], v[0:1]
	v_mov_b32_e32 v2, v1
	v_mov_b32_e32 v1, v0
	s_and_saveexec_b32 s1, vcc_lo
	s_cbranch_execz .LBB19_192
; %bb.191:
	v_cvt_f32_u32_e32 v1, s6
	s_sub_i32 s2, 0, s6
	s_delay_alu instid0(VALU_DEP_1) | instskip(SKIP_2) | instid1(VALU_DEP_1)
	v_rcp_iflag_f32_e32 v1, v1
	s_waitcnt_depctr 0xfff
	v_mul_f32_e32 v1, 0x4f7ffffe, v1
	v_cvt_u32_f32_e32 v1, v1
	s_delay_alu instid0(VALU_DEP_1) | instskip(NEXT) | instid1(VALU_DEP_1)
	v_mul_lo_u32 v2, s2, v1
	v_mul_hi_u32 v2, v1, v2
	s_delay_alu instid0(VALU_DEP_1) | instskip(NEXT) | instid1(VALU_DEP_1)
	v_add_nc_u32_e32 v1, v1, v2
	v_mul_hi_u32 v1, v0, v1
	s_delay_alu instid0(VALU_DEP_1) | instskip(NEXT) | instid1(VALU_DEP_1)
	v_mul_lo_u32 v1, v1, s6
	v_sub_nc_u32_e32 v1, v0, v1
	s_delay_alu instid0(VALU_DEP_1) | instskip(SKIP_1) | instid1(VALU_DEP_2)
	v_subrev_nc_u32_e32 v2, s6, v1
	v_cmp_le_u32_e32 vcc_lo, s6, v1
	v_cndmask_b32_e32 v1, v1, v2, vcc_lo
	s_delay_alu instid0(VALU_DEP_1) | instskip(SKIP_1) | instid1(VALU_DEP_2)
	v_subrev_nc_u32_e32 v2, s6, v1
	v_cmp_le_u32_e32 vcc_lo, s6, v1
	v_dual_cndmask_b32 v1, v1, v2 :: v_dual_mov_b32 v2, 0
.LBB19_192:
	s_or_b32 exec_lo, exec_lo, s1
	v_cvt_f64_f32_e32 v[3:4], v10
	s_ashr_i32 s1, s15, 31
	s_delay_alu instid0(VALU_DEP_1) | instskip(SKIP_1) | instid1(VALU_DEP_2)
	v_div_scale_f64 v[6:7], null, s[10:11], s[10:11], v[3:4]
	v_div_scale_f64 v[15:16], vcc_lo, v[3:4], s[10:11], v[3:4]
	v_rcp_f64_e32 v[11:12], v[6:7]
	s_waitcnt_depctr 0xfff
	v_fma_f64 v[13:14], -v[6:7], v[11:12], 1.0
	s_delay_alu instid0(VALU_DEP_1) | instskip(NEXT) | instid1(VALU_DEP_1)
	v_fma_f64 v[11:12], v[11:12], v[13:14], v[11:12]
	v_fma_f64 v[13:14], -v[6:7], v[11:12], 1.0
	s_delay_alu instid0(VALU_DEP_1) | instskip(NEXT) | instid1(VALU_DEP_1)
	v_fma_f64 v[11:12], v[11:12], v[13:14], v[11:12]
	v_mul_f64 v[13:14], v[15:16], v[11:12]
	s_delay_alu instid0(VALU_DEP_1) | instskip(NEXT) | instid1(VALU_DEP_1)
	v_fma_f64 v[6:7], -v[6:7], v[13:14], v[15:16]
	v_div_fmas_f64 v[6:7], v[6:7], v[11:12], v[13:14]
	v_add_nc_u32_e32 v13, s26, v1
	s_delay_alu instid0(VALU_DEP_2) | instskip(SKIP_1) | instid1(VALU_DEP_2)
	v_div_fixup_f64 v[3:4], v[6:7], s[10:11], v[3:4]
	v_mad_u64_u32 v[6:7], null, v0, s15, s[12:13]
	v_cvt_f32_f64_e32 v9, v[3:4]
	s_delay_alu instid0(VALU_DEP_2) | instskip(NEXT) | instid1(VALU_DEP_1)
	v_mov_b32_e32 v3, v7
	v_mad_u64_u32 v[11:12], null, v0, s1, v[3:4]
	v_cmp_lt_u64_e64 s1, s[6:7], 2
	s_delay_alu instid0(VALU_DEP_2) | instskip(NEXT) | instid1(VALU_DEP_1)
	v_mov_b32_e32 v7, v11
	v_lshlrev_b64 v[3:4], 2, v[6:7]
	s_delay_alu instid0(VALU_DEP_1) | instskip(NEXT) | instid1(VALU_DEP_2)
	v_add_co_u32 v6, vcc_lo, s22, v3
	v_add_co_ci_u32_e32 v7, vcc_lo, s23, v4, vcc_lo
	v_add_co_u32 v11, vcc_lo, s20, v3
	v_add_co_ci_u32_e32 v12, vcc_lo, s21, v4, vcc_lo
	s_and_b32 vcc_lo, exec_lo, s1
	global_store_b32 v[6:7], v13, off
	global_store_b32 v[11:12], v9, off
	s_cbranch_vccnz .LBB19_195
; %bb.193:
	v_add_co_u32 v6, vcc_lo, v3, 4
	v_add_co_ci_u32_e32 v7, vcc_lo, 0, v4, vcc_lo
	s_mov_b64 s[2:3], 1
	s_delay_alu instid0(VALU_DEP_2) | instskip(NEXT) | instid1(VALU_DEP_2)
	v_add_co_u32 v3, vcc_lo, s20, v6
	v_add_co_ci_u32_e32 v4, vcc_lo, s21, v7, vcc_lo
	v_add_co_u32 v6, vcc_lo, s22, v6
	v_add_co_ci_u32_e32 v7, vcc_lo, s23, v7, vcc_lo
	.p2align	6
.LBB19_194:                             ; =>This Inner Loop Header: Depth=1
	v_add_co_u32 v1, vcc_lo, v1, 1
	s_add_u32 s2, s2, 1
	s_addc_u32 s3, s3, 0
	v_add_co_ci_u32_e32 v2, vcc_lo, 0, v2, vcc_lo
	v_cmp_lt_u64_e64 s1, s[2:3], s[6:7]
	v_add_nc_u32_e32 v11, s26, v1
	global_store_b32 v[3:4], v9, off
	v_add_co_u32 v3, vcc_lo, v3, 4
	v_add_co_ci_u32_e32 v4, vcc_lo, 0, v4, vcc_lo
	s_and_b32 vcc_lo, exec_lo, s1
	global_store_b32 v[6:7], v11, off
	v_add_co_u32 v6, s1, v6, 4
	s_delay_alu instid0(VALU_DEP_1)
	v_add_co_ci_u32_e64 v7, s1, 0, v7, s1
	s_cbranch_vccnz .LBB19_194
.LBB19_195:
	s_or_b32 exec_lo, exec_lo, s8
	v_cmp_gt_i64_e64 s1, s[4:5], 0
	s_mov_b64 s[2:3], 0
	s_waitcnt_vscnt null, 0x0
	s_barrier
	buffer_gl0_inv
	s_and_b32 s0, s1, s0
	s_delay_alu instid0(SALU_CYCLE_1)
	s_and_b32 exec_lo, exec_lo, s0
	s_cbranch_execz .LBB19_202
; %bb.196:
	v_mad_u64_u32 v[1:2], null, v0, s15, 0
	s_ashr_i32 s0, s15, 31
	s_delay_alu instid0(VALU_DEP_1) | instid1(SALU_CYCLE_1)
	v_mad_u64_u32 v[3:4], null, v0, s0, v[2:3]
	v_cmp_lt_u64_e64 s0, s[4:5], 8
	s_delay_alu instid0(VALU_DEP_2) | instskip(NEXT) | instid1(VALU_DEP_1)
	v_mov_b32_e32 v2, v3
	v_lshlrev_b64 v[0:1], 2, v[1:2]
	s_delay_alu instid0(VALU_DEP_1) | instskip(NEXT) | instid1(VALU_DEP_2)
	v_add_co_u32 v0, vcc_lo, s20, v0
	v_add_co_ci_u32_e32 v1, vcc_lo, s21, v1, vcc_lo
	s_and_b32 vcc_lo, exec_lo, s0
	s_cbranch_vccnz .LBB19_199
; %bb.197:
	s_and_b32 s3, s5, 0x7fffffff
	s_and_b32 s2, s4, -8
	s_mov_b64 s[0:1], 0
	s_mov_b64 s[6:7], s[2:3]
.LBB19_198:                             ; =>This Inner Loop Header: Depth=1
	v_add_co_u32 v2, vcc_lo, v5, s0
	v_add_co_ci_u32_e32 v3, vcc_lo, s1, v8, vcc_lo
	flat_load_b32 v4, v[2:3]
	s_waitcnt vmcnt(0) lgkmcnt(0)
	v_div_scale_f32 v6, null, v10, v10, v4
	v_div_scale_f32 v11, vcc_lo, v4, v10, v4
	s_delay_alu instid0(VALU_DEP_2) | instskip(SKIP_2) | instid1(VALU_DEP_1)
	v_rcp_f32_e32 v7, v6
	s_waitcnt_depctr 0xfff
	v_fma_f32 v9, -v6, v7, 1.0
	v_fmac_f32_e32 v7, v9, v7
	s_delay_alu instid0(VALU_DEP_1) | instskip(NEXT) | instid1(VALU_DEP_1)
	v_mul_f32_e32 v9, v11, v7
	v_fma_f32 v12, -v6, v9, v11
	s_delay_alu instid0(VALU_DEP_1) | instskip(NEXT) | instid1(VALU_DEP_1)
	v_fmac_f32_e32 v9, v12, v7
	v_fma_f32 v6, -v6, v9, v11
	s_delay_alu instid0(VALU_DEP_1) | instskip(SKIP_2) | instid1(VALU_DEP_3)
	v_div_fmas_f32 v9, v6, v7, v9
	v_add_co_u32 v6, vcc_lo, v0, s0
	v_add_co_ci_u32_e32 v7, vcc_lo, s1, v1, vcc_lo
	v_div_fixup_f32 v4, v9, v10, v4
	s_add_u32 s0, s0, 32
	s_addc_u32 s1, s1, 0
	s_add_u32 s6, s6, -8
	s_addc_u32 s7, s7, -1
	global_store_b32 v[6:7], v4, off
	flat_load_b32 v4, v[2:3] offset:4
	s_cmp_lg_u64 s[6:7], 0
	s_waitcnt vmcnt(0) lgkmcnt(0)
	v_div_scale_f32 v9, null, v10, v10, v4
	v_div_scale_f32 v13, vcc_lo, v4, v10, v4
	s_delay_alu instid0(VALU_DEP_2) | instskip(SKIP_2) | instid1(VALU_DEP_1)
	v_rcp_f32_e32 v11, v9
	s_waitcnt_depctr 0xfff
	v_fma_f32 v12, -v9, v11, 1.0
	v_fmac_f32_e32 v11, v12, v11
	s_delay_alu instid0(VALU_DEP_1) | instskip(NEXT) | instid1(VALU_DEP_1)
	v_mul_f32_e32 v12, v13, v11
	v_fma_f32 v14, -v9, v12, v13
	s_delay_alu instid0(VALU_DEP_1) | instskip(NEXT) | instid1(VALU_DEP_1)
	v_fmac_f32_e32 v12, v14, v11
	v_fma_f32 v9, -v9, v12, v13
	s_delay_alu instid0(VALU_DEP_1) | instskip(NEXT) | instid1(VALU_DEP_1)
	v_div_fmas_f32 v9, v9, v11, v12
	v_div_fixup_f32 v4, v9, v10, v4
	global_store_b32 v[6:7], v4, off offset:4
	flat_load_b32 v4, v[2:3] offset:8
	s_waitcnt vmcnt(0) lgkmcnt(0)
	v_div_scale_f32 v9, null, v10, v10, v4
	v_div_scale_f32 v13, vcc_lo, v4, v10, v4
	s_delay_alu instid0(VALU_DEP_2) | instskip(SKIP_2) | instid1(VALU_DEP_1)
	v_rcp_f32_e32 v11, v9
	s_waitcnt_depctr 0xfff
	v_fma_f32 v12, -v9, v11, 1.0
	v_fmac_f32_e32 v11, v12, v11
	s_delay_alu instid0(VALU_DEP_1) | instskip(NEXT) | instid1(VALU_DEP_1)
	v_mul_f32_e32 v12, v13, v11
	v_fma_f32 v14, -v9, v12, v13
	s_delay_alu instid0(VALU_DEP_1) | instskip(NEXT) | instid1(VALU_DEP_1)
	v_fmac_f32_e32 v12, v14, v11
	v_fma_f32 v9, -v9, v12, v13
	s_delay_alu instid0(VALU_DEP_1) | instskip(NEXT) | instid1(VALU_DEP_1)
	v_div_fmas_f32 v9, v9, v11, v12
	v_div_fixup_f32 v4, v9, v10, v4
	global_store_b32 v[6:7], v4, off offset:8
	flat_load_b32 v4, v[2:3] offset:12
	;; [unrolled: 19-line block ×6, first 2 shown]
	s_waitcnt vmcnt(0) lgkmcnt(0)
	v_div_scale_f32 v3, null, v10, v10, v2
	v_div_scale_f32 v11, vcc_lo, v2, v10, v2
	s_delay_alu instid0(VALU_DEP_2) | instskip(SKIP_2) | instid1(VALU_DEP_1)
	v_rcp_f32_e32 v4, v3
	s_waitcnt_depctr 0xfff
	v_fma_f32 v9, -v3, v4, 1.0
	v_fmac_f32_e32 v4, v9, v4
	s_delay_alu instid0(VALU_DEP_1) | instskip(NEXT) | instid1(VALU_DEP_1)
	v_mul_f32_e32 v9, v11, v4
	v_fma_f32 v12, -v3, v9, v11
	s_delay_alu instid0(VALU_DEP_1) | instskip(NEXT) | instid1(VALU_DEP_1)
	v_fmac_f32_e32 v9, v12, v4
	v_fma_f32 v3, -v3, v9, v11
	s_delay_alu instid0(VALU_DEP_1) | instskip(NEXT) | instid1(VALU_DEP_1)
	v_div_fmas_f32 v3, v3, v4, v9
	v_div_fixup_f32 v2, v3, v10, v2
	global_store_b32 v[6:7], v2, off offset:28
	s_cbranch_scc1 .LBB19_198
.LBB19_199:
	s_and_b32 s0, s4, 7
	s_mov_b32 s1, 0
	s_delay_alu instid0(SALU_CYCLE_1)
	s_cmp_eq_u64 s[0:1], 0
	s_cbranch_scc1 .LBB19_202
; %bb.200:
	s_mov_b64 s[4:5], s[0:1]
	s_set_inst_prefetch_distance 0x1
	.p2align	6
.LBB19_201:                             ; =>This Inner Loop Header: Depth=1
	s_lshl_b64 s[6:7], s[2:3], 2
	s_add_i32 s0, s2, 1
	v_add_co_u32 v2, vcc_lo, v5, s6
	v_add_co_ci_u32_e32 v3, vcc_lo, s7, v8, vcc_lo
	s_add_u32 s4, s4, -1
	s_addc_u32 s5, s5, -1
	s_mov_b64 s[2:3], s[0:1]
	flat_load_b32 v4, v[2:3]
	s_cmp_lg_u64 s[4:5], 0
	s_waitcnt vmcnt(0) lgkmcnt(0)
	v_div_scale_f32 v2, null, v10, v10, v4
	v_div_scale_f32 v7, vcc_lo, v4, v10, v4
	s_delay_alu instid0(VALU_DEP_2) | instskip(SKIP_2) | instid1(VALU_DEP_1)
	v_rcp_f32_e32 v3, v2
	s_waitcnt_depctr 0xfff
	v_fma_f32 v6, -v2, v3, 1.0
	v_fmac_f32_e32 v3, v6, v3
	s_delay_alu instid0(VALU_DEP_1) | instskip(NEXT) | instid1(VALU_DEP_1)
	v_mul_f32_e32 v6, v7, v3
	v_fma_f32 v9, -v2, v6, v7
	s_delay_alu instid0(VALU_DEP_1) | instskip(NEXT) | instid1(VALU_DEP_1)
	v_fmac_f32_e32 v6, v9, v3
	v_fma_f32 v2, -v2, v6, v7
	s_delay_alu instid0(VALU_DEP_1) | instskip(SKIP_2) | instid1(VALU_DEP_3)
	v_div_fmas_f32 v6, v2, v3, v6
	v_add_co_u32 v2, vcc_lo, v0, s6
	v_add_co_ci_u32_e32 v3, vcc_lo, s7, v1, vcc_lo
	v_div_fixup_f32 v4, v6, v10, v4
	global_store_b32 v[2:3], v4, off
	s_cbranch_scc1 .LBB19_201
.LBB19_202:
	s_set_inst_prefetch_distance 0x2
	s_nop 0
	s_sendmsg sendmsg(MSG_DEALLOC_VGPRS)
	s_endpgm
	.section	.rodata,"a",@progbits
	.p2align	6, 0x0
	.amdhsa_kernel _Z29moe_fused_gate_kernel_dynamicItEvPvS0_PfPilllllldi
		.amdhsa_group_segment_fixed_size 0
		.amdhsa_private_segment_fixed_size 272
		.amdhsa_kernarg_size 92
		.amdhsa_user_sgpr_count 15
		.amdhsa_user_sgpr_dispatch_ptr 0
		.amdhsa_user_sgpr_queue_ptr 0
		.amdhsa_user_sgpr_kernarg_segment_ptr 1
		.amdhsa_user_sgpr_dispatch_id 0
		.amdhsa_user_sgpr_private_segment_size 0
		.amdhsa_wavefront_size32 1
		.amdhsa_uses_dynamic_stack 0
		.amdhsa_enable_private_segment 1
		.amdhsa_system_sgpr_workgroup_id_x 1
		.amdhsa_system_sgpr_workgroup_id_y 0
		.amdhsa_system_sgpr_workgroup_id_z 0
		.amdhsa_system_sgpr_workgroup_info 0
		.amdhsa_system_vgpr_workitem_id 1
		.amdhsa_next_free_vgpr 29
		.amdhsa_next_free_sgpr 37
		.amdhsa_reserve_vcc 1
		.amdhsa_float_round_mode_32 0
		.amdhsa_float_round_mode_16_64 0
		.amdhsa_float_denorm_mode_32 3
		.amdhsa_float_denorm_mode_16_64 3
		.amdhsa_dx10_clamp 1
		.amdhsa_ieee_mode 1
		.amdhsa_fp16_overflow 0
		.amdhsa_workgroup_processor_mode 1
		.amdhsa_memory_ordered 1
		.amdhsa_forward_progress 0
		.amdhsa_shared_vgpr_count 0
		.amdhsa_exception_fp_ieee_invalid_op 0
		.amdhsa_exception_fp_denorm_src 0
		.amdhsa_exception_fp_ieee_div_zero 0
		.amdhsa_exception_fp_ieee_overflow 0
		.amdhsa_exception_fp_ieee_underflow 0
		.amdhsa_exception_fp_ieee_inexact 0
		.amdhsa_exception_int_div_zero 0
	.end_amdhsa_kernel
	.section	.text._Z29moe_fused_gate_kernel_dynamicItEvPvS0_PfPilllllldi,"axG",@progbits,_Z29moe_fused_gate_kernel_dynamicItEvPvS0_PfPilllllldi,comdat
.Lfunc_end19:
	.size	_Z29moe_fused_gate_kernel_dynamicItEvPvS0_PfPilllllldi, .Lfunc_end19-_Z29moe_fused_gate_kernel_dynamicItEvPvS0_PfPilllllldi
                                        ; -- End function
	.section	.AMDGPU.csdata,"",@progbits
; Kernel info:
; codeLenInByte = 10420
; NumSgprs: 39
; NumVgprs: 29
; ScratchSize: 272
; MemoryBound: 0
; FloatMode: 240
; IeeeMode: 1
; LDSByteSize: 0 bytes/workgroup (compile time only)
; SGPRBlocks: 4
; VGPRBlocks: 3
; NumSGPRsForWavesPerEU: 39
; NumVGPRsForWavesPerEU: 29
; Occupancy: 16
; WaveLimiterHint : 0
; COMPUTE_PGM_RSRC2:SCRATCH_EN: 1
; COMPUTE_PGM_RSRC2:USER_SGPR: 15
; COMPUTE_PGM_RSRC2:TRAP_HANDLER: 0
; COMPUTE_PGM_RSRC2:TGID_X_EN: 1
; COMPUTE_PGM_RSRC2:TGID_Y_EN: 0
; COMPUTE_PGM_RSRC2:TGID_Z_EN: 0
; COMPUTE_PGM_RSRC2:TIDIG_COMP_CNT: 1
	.section	.text._Z29moe_fused_gate_kernel_dynamicIDF16_EvPvS0_PfPilllllldi,"axG",@progbits,_Z29moe_fused_gate_kernel_dynamicIDF16_EvPvS0_PfPilllllldi,comdat
	.protected	_Z29moe_fused_gate_kernel_dynamicIDF16_EvPvS0_PfPilllllldi ; -- Begin function _Z29moe_fused_gate_kernel_dynamicIDF16_EvPvS0_PfPilllllldi
	.globl	_Z29moe_fused_gate_kernel_dynamicIDF16_EvPvS0_PfPilllllldi
	.p2align	8
	.type	_Z29moe_fused_gate_kernel_dynamicIDF16_EvPvS0_PfPilllllldi,@function
_Z29moe_fused_gate_kernel_dynamicIDF16_EvPvS0_PfPilllllldi: ; @_Z29moe_fused_gate_kernel_dynamicIDF16_EvPvS0_PfPilllllldi
; %bb.0:
	s_load_b512 s[16:31], s[0:1], 0x0
	s_waitcnt lgkmcnt(0)
	s_or_b64 s[2:3], s[26:27], s[28:29]
	s_mov_b32 s2, 0
	s_delay_alu instid0(SALU_CYCLE_1)
	s_cmp_lg_u64 s[2:3], 0
	s_cbranch_scc0 .LBB20_21
; %bb.1:
	s_ashr_i32 s4, s29, 31
	s_delay_alu instid0(SALU_CYCLE_1) | instskip(SKIP_2) | instid1(SALU_CYCLE_1)
	s_add_u32 s6, s28, s4
	s_mov_b32 s5, s4
	s_addc_u32 s7, s29, s4
	s_xor_b64 s[6:7], s[6:7], s[4:5]
	s_delay_alu instid0(SALU_CYCLE_1) | instskip(SKIP_3) | instid1(VALU_DEP_1)
	v_cvt_f32_u32_e32 v1, s6
	v_cvt_f32_u32_e32 v2, s7
	s_sub_u32 s9, 0, s6
	s_subb_u32 s10, 0, s7
	v_fmamk_f32 v1, v2, 0x4f800000, v1
	s_delay_alu instid0(VALU_DEP_1) | instskip(SKIP_2) | instid1(VALU_DEP_1)
	v_rcp_f32_e32 v1, v1
	s_waitcnt_depctr 0xfff
	v_mul_f32_e32 v1, 0x5f7ffffc, v1
	v_mul_f32_e32 v2, 0x2f800000, v1
	s_delay_alu instid0(VALU_DEP_1) | instskip(NEXT) | instid1(VALU_DEP_1)
	v_trunc_f32_e32 v2, v2
	v_fmamk_f32 v1, v2, 0xcf800000, v1
	v_cvt_u32_f32_e32 v2, v2
	s_delay_alu instid0(VALU_DEP_2) | instskip(NEXT) | instid1(VALU_DEP_2)
	v_cvt_u32_f32_e32 v1, v1
	v_readfirstlane_b32 s3, v2
	s_delay_alu instid0(VALU_DEP_2) | instskip(NEXT) | instid1(VALU_DEP_2)
	v_readfirstlane_b32 s8, v1
	s_mul_i32 s11, s9, s3
	s_delay_alu instid0(VALU_DEP_1)
	s_mul_hi_u32 s13, s9, s8
	s_mul_i32 s12, s10, s8
	s_add_i32 s11, s13, s11
	s_mul_i32 s14, s9, s8
	s_add_i32 s11, s11, s12
	s_mul_hi_u32 s13, s8, s14
	s_mul_hi_u32 s33, s3, s14
	s_mul_i32 s12, s3, s14
	s_mul_hi_u32 s14, s8, s11
	s_mul_i32 s8, s8, s11
	s_mul_hi_u32 s34, s3, s11
	s_add_u32 s8, s13, s8
	s_addc_u32 s13, 0, s14
	s_add_u32 s8, s8, s12
	s_mul_i32 s11, s3, s11
	s_addc_u32 s8, s13, s33
	s_addc_u32 s12, s34, 0
	s_add_u32 s8, s8, s11
	s_addc_u32 s11, 0, s12
	v_add_co_u32 v1, s8, v1, s8
	s_delay_alu instid0(VALU_DEP_1) | instskip(SKIP_1) | instid1(VALU_DEP_1)
	s_cmp_lg_u32 s8, 0
	s_addc_u32 s3, s3, s11
	v_readfirstlane_b32 s8, v1
	s_mul_i32 s11, s9, s3
	s_delay_alu instid0(VALU_DEP_1)
	s_mul_hi_u32 s12, s9, s8
	s_mul_i32 s10, s10, s8
	s_add_i32 s11, s12, s11
	s_mul_i32 s9, s9, s8
	s_add_i32 s11, s11, s10
	s_mul_hi_u32 s12, s3, s9
	s_mul_i32 s13, s3, s9
	s_mul_hi_u32 s9, s8, s9
	s_mul_hi_u32 s14, s8, s11
	s_mul_i32 s8, s8, s11
	s_mul_hi_u32 s10, s3, s11
	s_add_u32 s8, s9, s8
	s_addc_u32 s9, 0, s14
	s_add_u32 s8, s8, s13
	s_mul_i32 s11, s3, s11
	s_addc_u32 s8, s9, s12
	s_addc_u32 s9, s10, 0
	s_add_u32 s8, s8, s11
	s_addc_u32 s9, 0, s9
	v_add_co_u32 v1, s8, v1, s8
	s_delay_alu instid0(VALU_DEP_1) | instskip(SKIP_2) | instid1(VALU_DEP_1)
	s_cmp_lg_u32 s8, 0
	s_addc_u32 s3, s3, s9
	s_ashr_i32 s8, s27, 31
	v_readfirstlane_b32 s12, v1
	s_add_u32 s10, s26, s8
	s_mov_b32 s9, s8
	s_addc_u32 s11, s27, s8
	s_delay_alu instid0(SALU_CYCLE_1) | instskip(NEXT) | instid1(SALU_CYCLE_1)
	s_xor_b64 s[10:11], s[10:11], s[8:9]
	s_mul_i32 s14, s10, s3
	s_mul_hi_u32 s33, s10, s12
	s_mul_hi_u32 s13, s10, s3
	;; [unrolled: 1-line block ×3, first 2 shown]
	s_mul_i32 s12, s11, s12
	s_add_u32 s14, s33, s14
	s_addc_u32 s13, 0, s13
	s_mul_hi_u32 s34, s11, s3
	s_add_u32 s12, s14, s12
	s_mul_i32 s3, s11, s3
	s_addc_u32 s12, s13, s35
	s_addc_u32 s13, s34, 0
	s_add_u32 s3, s12, s3
	s_addc_u32 s12, 0, s13
	s_mul_i32 s34, s6, s3
	s_mul_hi_u32 s13, s6, s3
	s_mul_i32 s33, s6, s12
	v_sub_co_u32 v1, s10, s10, s34
	s_mul_i32 s14, s7, s3
	s_add_i32 s13, s13, s33
	s_delay_alu instid0(SALU_CYCLE_1) | instskip(NEXT) | instid1(VALU_DEP_1)
	s_add_i32 s13, s13, s14
	v_sub_co_u32 v2, s33, v1, s6
	s_sub_i32 s14, s11, s13
	s_cmp_lg_u32 s10, 0
	s_subb_u32 s14, s14, s7
	s_cmp_lg_u32 s33, 0
	v_readfirstlane_b32 s33, v2
	s_subb_u32 s14, s14, 0
	s_delay_alu instid0(SALU_CYCLE_1) | instskip(SKIP_1) | instid1(VALU_DEP_1)
	s_cmp_ge_u32 s14, s7
	s_cselect_b32 s34, -1, 0
	s_cmp_ge_u32 s33, s6
	s_cselect_b32 s33, -1, 0
	s_cmp_eq_u32 s14, s7
	s_cselect_b32 s14, s33, s34
	s_add_u32 s33, s3, 1
	s_addc_u32 s34, s12, 0
	s_add_u32 s35, s3, 2
	s_addc_u32 s36, s12, 0
	s_cmp_lg_u32 s14, 0
	s_cselect_b32 s14, s35, s33
	s_cselect_b32 s33, s36, s34
	s_cmp_lg_u32 s10, 0
	v_readfirstlane_b32 s10, v1
	s_subb_u32 s11, s11, s13
	s_delay_alu instid0(SALU_CYCLE_1) | instskip(SKIP_1) | instid1(VALU_DEP_1)
	s_cmp_ge_u32 s11, s7
	s_cselect_b32 s13, -1, 0
	s_cmp_ge_u32 s10, s6
	s_cselect_b32 s6, -1, 0
	s_cmp_eq_u32 s11, s7
	s_cselect_b32 s6, s6, s13
	s_delay_alu instid0(SALU_CYCLE_1) | instskip(SKIP_3) | instid1(SALU_CYCLE_1)
	s_cmp_lg_u32 s6, 0
	s_cselect_b32 s7, s33, s12
	s_cselect_b32 s6, s14, s3
	s_xor_b64 s[4:5], s[8:9], s[4:5]
	s_xor_b64 s[6:7], s[6:7], s[4:5]
	s_delay_alu instid0(SALU_CYCLE_1)
	s_sub_u32 s8, s6, s4
	s_and_not1_b32 vcc_lo, exec_lo, s2
	s_cbranch_vccnz .LBB20_3
.LBB20_2:
	v_cvt_f32_u32_e32 v1, s28
	s_sub_i32 s3, 0, s28
	s_delay_alu instid0(VALU_DEP_1) | instskip(SKIP_2) | instid1(VALU_DEP_1)
	v_rcp_iflag_f32_e32 v1, v1
	s_waitcnt_depctr 0xfff
	v_mul_f32_e32 v1, 0x4f7ffffe, v1
	v_cvt_u32_f32_e32 v1, v1
	s_delay_alu instid0(VALU_DEP_1) | instskip(NEXT) | instid1(VALU_DEP_1)
	v_readfirstlane_b32 s2, v1
	s_mul_i32 s3, s3, s2
	s_delay_alu instid0(SALU_CYCLE_1) | instskip(NEXT) | instid1(SALU_CYCLE_1)
	s_mul_hi_u32 s3, s2, s3
	s_add_i32 s2, s2, s3
	s_delay_alu instid0(SALU_CYCLE_1) | instskip(NEXT) | instid1(SALU_CYCLE_1)
	s_mul_hi_u32 s2, s26, s2
	s_mul_i32 s3, s2, s28
	s_add_i32 s4, s2, 1
	s_sub_i32 s3, s26, s3
	s_delay_alu instid0(SALU_CYCLE_1)
	s_sub_i32 s5, s3, s28
	s_cmp_ge_u32 s3, s28
	s_cselect_b32 s2, s4, s2
	s_cselect_b32 s3, s5, s3
	s_add_i32 s4, s2, 1
	s_cmp_ge_u32 s3, s28
	s_cselect_b32 s8, s4, s2
.LBB20_3:
	s_mov_b32 s2, 0
	s_mov_b32 s3, s29
	s_delay_alu instid0(SALU_CYCLE_1)
	s_cmp_lg_u64 s[2:3], 0
	s_cbranch_scc0 .LBB20_22
; %bb.4:
	s_ashr_i32 s4, s29, 31
	s_delay_alu instid0(SALU_CYCLE_1) | instskip(SKIP_2) | instid1(SALU_CYCLE_1)
	s_add_u32 s6, s28, s4
	s_mov_b32 s5, s4
	s_addc_u32 s7, s29, s4
	s_xor_b64 s[6:7], s[6:7], s[4:5]
	s_delay_alu instid0(SALU_CYCLE_1) | instskip(SKIP_3) | instid1(VALU_DEP_1)
	v_cvt_f32_u32_e32 v1, s6
	v_cvt_f32_u32_e32 v2, s7
	s_sub_u32 s10, 0, s6
	s_subb_u32 s11, 0, s7
	v_fmamk_f32 v1, v2, 0x4f800000, v1
	s_delay_alu instid0(VALU_DEP_1) | instskip(SKIP_2) | instid1(VALU_DEP_1)
	v_rcp_f32_e32 v1, v1
	s_waitcnt_depctr 0xfff
	v_mul_f32_e32 v1, 0x5f7ffffc, v1
	v_mul_f32_e32 v2, 0x2f800000, v1
	s_delay_alu instid0(VALU_DEP_1) | instskip(NEXT) | instid1(VALU_DEP_1)
	v_trunc_f32_e32 v2, v2
	v_fmamk_f32 v1, v2, 0xcf800000, v1
	v_cvt_u32_f32_e32 v2, v2
	s_delay_alu instid0(VALU_DEP_2) | instskip(NEXT) | instid1(VALU_DEP_2)
	v_cvt_u32_f32_e32 v1, v1
	v_readfirstlane_b32 s3, v2
	s_delay_alu instid0(VALU_DEP_2) | instskip(NEXT) | instid1(VALU_DEP_2)
	v_readfirstlane_b32 s9, v1
	s_mul_i32 s12, s10, s3
	s_delay_alu instid0(VALU_DEP_1)
	s_mul_hi_u32 s14, s10, s9
	s_mul_i32 s13, s11, s9
	s_add_i32 s12, s14, s12
	s_mul_i32 s33, s10, s9
	s_add_i32 s12, s12, s13
	s_mul_hi_u32 s14, s9, s33
	s_mul_hi_u32 s34, s3, s33
	s_mul_i32 s13, s3, s33
	s_mul_hi_u32 s33, s9, s12
	s_mul_i32 s9, s9, s12
	s_mul_hi_u32 s35, s3, s12
	s_add_u32 s9, s14, s9
	s_addc_u32 s14, 0, s33
	s_add_u32 s9, s9, s13
	s_mul_i32 s12, s3, s12
	s_addc_u32 s9, s14, s34
	s_addc_u32 s13, s35, 0
	s_add_u32 s9, s9, s12
	s_addc_u32 s12, 0, s13
	v_add_co_u32 v1, s9, v1, s9
	s_delay_alu instid0(VALU_DEP_1) | instskip(SKIP_1) | instid1(VALU_DEP_1)
	s_cmp_lg_u32 s9, 0
	s_addc_u32 s3, s3, s12
	v_readfirstlane_b32 s9, v1
	s_mul_i32 s12, s10, s3
	s_delay_alu instid0(VALU_DEP_1)
	s_mul_hi_u32 s13, s10, s9
	s_mul_i32 s11, s11, s9
	s_add_i32 s12, s13, s12
	s_mul_i32 s10, s10, s9
	s_add_i32 s12, s12, s11
	s_mul_hi_u32 s13, s3, s10
	s_mul_i32 s14, s3, s10
	s_mul_hi_u32 s10, s9, s10
	s_mul_hi_u32 s33, s9, s12
	s_mul_i32 s9, s9, s12
	s_mul_hi_u32 s11, s3, s12
	s_add_u32 s9, s10, s9
	s_addc_u32 s10, 0, s33
	s_add_u32 s9, s9, s14
	s_mul_i32 s12, s3, s12
	s_addc_u32 s9, s10, s13
	s_addc_u32 s10, s11, 0
	s_add_u32 s9, s9, s12
	s_addc_u32 s10, 0, s10
	v_add_co_u32 v1, s9, v1, s9
	s_delay_alu instid0(VALU_DEP_1) | instskip(SKIP_1) | instid1(SALU_CYCLE_1)
	s_cmp_lg_u32 s9, 0
	s_addc_u32 s3, s3, s10
	s_lshr_b32 s3, s3, 27
	s_delay_alu instid0(SALU_CYCLE_1)
	s_mul_i32 s9, s7, s3
	s_mul_hi_u32 s10, s6, s3
	s_mul_i32 s11, s6, s3
	s_add_i32 s10, s10, s9
	v_sub_co_u32 v1, s9, 32, s11
	s_sub_i32 s11, 0, s10
	s_cmp_lg_u32 s9, 0
	s_delay_alu instid0(VALU_DEP_1) | instskip(SKIP_2) | instid1(VALU_DEP_1)
	v_sub_co_u32 v2, s12, v1, s6
	s_subb_u32 s11, s11, s7
	s_cmp_lg_u32 s12, 0
	v_readfirstlane_b32 s12, v2
	s_subb_u32 s11, s11, 0
	s_delay_alu instid0(SALU_CYCLE_1) | instskip(SKIP_1) | instid1(VALU_DEP_1)
	s_cmp_ge_u32 s11, s7
	s_cselect_b32 s13, -1, 0
	s_cmp_ge_u32 s12, s6
	s_cselect_b32 s12, -1, 0
	s_cmp_eq_u32 s11, s7
	s_cselect_b32 s11, s12, s13
	s_add_u32 s12, s3, 1
	s_addc_u32 s13, 0, 0
	s_add_u32 s14, s3, 2
	s_addc_u32 s33, 0, 0
	s_cmp_lg_u32 s11, 0
	s_cselect_b32 s11, s14, s12
	s_cselect_b32 s12, s33, s13
	s_cmp_lg_u32 s9, 0
	v_readfirstlane_b32 s9, v1
	s_subb_u32 s10, 0, s10
	s_delay_alu instid0(SALU_CYCLE_1) | instskip(SKIP_1) | instid1(VALU_DEP_1)
	s_cmp_ge_u32 s10, s7
	s_cselect_b32 s13, -1, 0
	s_cmp_ge_u32 s9, s6
	s_cselect_b32 s6, -1, 0
	s_cmp_eq_u32 s10, s7
	s_cselect_b32 s6, s6, s13
	s_delay_alu instid0(SALU_CYCLE_1) | instskip(SKIP_2) | instid1(SALU_CYCLE_1)
	s_cmp_lg_u32 s6, 0
	s_cselect_b32 s7, s12, 0
	s_cselect_b32 s6, s11, s3
	s_xor_b64 s[6:7], s[6:7], s[4:5]
	s_delay_alu instid0(SALU_CYCLE_1)
	s_sub_u32 s6, s6, s4
	s_subb_u32 s7, s7, s4
	s_and_not1_b32 vcc_lo, exec_lo, s2
	s_cbranch_vccnz .LBB20_6
.LBB20_5:
	v_cvt_f32_u32_e32 v1, s28
	s_sub_i32 s3, 0, s28
	s_mov_b32 s7, 0
	s_delay_alu instid0(VALU_DEP_1) | instskip(SKIP_2) | instid1(VALU_DEP_1)
	v_rcp_iflag_f32_e32 v1, v1
	s_waitcnt_depctr 0xfff
	v_mul_f32_e32 v1, 0x4f7ffffe, v1
	v_cvt_u32_f32_e32 v1, v1
	s_delay_alu instid0(VALU_DEP_1) | instskip(NEXT) | instid1(VALU_DEP_1)
	v_readfirstlane_b32 s2, v1
	s_mul_i32 s3, s3, s2
	s_delay_alu instid0(SALU_CYCLE_1) | instskip(NEXT) | instid1(SALU_CYCLE_1)
	s_mul_hi_u32 s3, s2, s3
	s_add_i32 s2, s2, s3
	s_delay_alu instid0(SALU_CYCLE_1) | instskip(NEXT) | instid1(SALU_CYCLE_1)
	s_lshr_b32 s2, s2, 27
	s_mul_i32 s3, s2, s28
	s_add_i32 s4, s2, 1
	s_sub_i32 s3, 32, s3
	s_delay_alu instid0(SALU_CYCLE_1)
	s_sub_i32 s5, s3, s28
	s_cmp_ge_u32 s3, s28
	s_cselect_b32 s2, s4, s2
	s_cselect_b32 s3, s5, s3
	s_add_i32 s4, s2, 1
	s_cmp_ge_u32 s3, s28
	s_cselect_b32 s6, s4, s2
.LBB20_6:
	s_delay_alu instid0(SALU_CYCLE_1) | instskip(NEXT) | instid1(VALU_DEP_1)
	v_cmp_gt_i64_e64 s2, s[6:7], 1
	s_and_b32 s2, s2, exec_lo
	s_cselect_b32 s2, s6, 1
	s_abs_i32 s3, s28
	s_delay_alu instid0(SALU_CYCLE_1) | instskip(SKIP_1) | instid1(VALU_DEP_1)
	v_cvt_f32_u32_e32 v1, s3
	s_sub_i32 s4, 0, s3
	v_rcp_iflag_f32_e32 v1, v1
	s_waitcnt_depctr 0xfff
	v_mul_f32_e32 v1, 0x4f7ffffe, v1
	s_delay_alu instid0(VALU_DEP_1) | instskip(NEXT) | instid1(VALU_DEP_1)
	v_cvt_u32_f32_e32 v1, v1
	v_mul_lo_u32 v2, s4, v1
	s_mov_b32 s4, 0
	s_delay_alu instid0(VALU_DEP_1) | instskip(SKIP_2) | instid1(VALU_DEP_3)
	v_mul_hi_u32 v3, v1, v2
	v_and_b32_e32 v2, 0x3ff, v0
	v_bfe_u32 v0, v0, 10, 10
	v_add_nc_u32_e32 v1, v1, v3
	s_delay_alu instid0(VALU_DEP_1) | instskip(NEXT) | instid1(VALU_DEP_1)
	v_mul_hi_u32 v1, v2, v1
	v_mul_lo_u32 v3, v1, s3
	v_add_nc_u32_e32 v4, 1, v1
	s_delay_alu instid0(VALU_DEP_2) | instskip(NEXT) | instid1(VALU_DEP_1)
	v_sub_nc_u32_e32 v3, v2, v3
	v_subrev_nc_u32_e32 v5, s3, v3
	v_cmp_le_u32_e32 vcc_lo, s3, v3
	s_delay_alu instid0(VALU_DEP_4) | instskip(NEXT) | instid1(VALU_DEP_3)
	v_cndmask_b32_e32 v1, v1, v4, vcc_lo
	v_cndmask_b32_e32 v3, v3, v5, vcc_lo
	s_delay_alu instid0(VALU_DEP_2) | instskip(NEXT) | instid1(VALU_DEP_2)
	v_add_nc_u32_e32 v4, 1, v1
	v_cmp_le_u32_e32 vcc_lo, s3, v3
	s_ashr_i32 s3, s28, 31
	v_add_nc_u32_e32 v3, s15, v0
	s_delay_alu instid0(VALU_DEP_3) | instskip(NEXT) | instid1(VALU_DEP_1)
	v_cndmask_b32_e32 v1, v1, v4, vcc_lo
	v_xor_b32_e32 v1, s3, v1
	s_delay_alu instid0(VALU_DEP_1) | instskip(NEXT) | instid1(VALU_DEP_1)
	v_subrev_nc_u32_e32 v4, s3, v1
	v_mad_u64_u32 v[0:1], null, v3, s2, v[4:5]
	v_mov_b32_e32 v1, 0
	s_mov_b32 s2, exec_lo
	s_delay_alu instid0(VALU_DEP_1)
	v_cmpx_gt_i64_e64 s[24:25], v[0:1]
	s_cbranch_execz .LBB20_202
; %bb.7:
	v_mul_lo_u32 v3, v4, s28
	s_mov_b32 s7, s4
	s_mov_b32 s5, s4
	;; [unrolled: 1-line block ×3, first 2 shown]
	s_delay_alu instid0(SALU_CYCLE_1) | instskip(SKIP_1) | instid1(VALU_DEP_3)
	v_dual_mov_b32 v13, s7 :: v_dual_mov_b32 v12, s6
	v_dual_mov_b32 v11, s5 :: v_dual_mov_b32 v10, s4
	v_sub_nc_u32_e32 v9, v2, v3
	v_dual_mov_b32 v5, 0xff7fffff :: v_dual_mov_b32 v6, 0xff7fffff
	v_mov_b32_e32 v3, v1
	s_cmp_gt_i32 s8, 0
	s_delay_alu instid0(VALU_DEP_3)
	v_mul_lo_u32 v2, v9, s8
	s_cselect_b32 s14, -1, 0
	s_cmp_lt_i32 s8, 1
	s_clause 0xf
	scratch_store_b128 off, v[10:13], off offset:112
	scratch_store_b128 off, v[10:13], off offset:96
	;; [unrolled: 1-line block ×7, first 2 shown]
	scratch_store_b128 off, v[10:13], off
	scratch_store_b128 off, v[10:13], off offset:240
	scratch_store_b128 off, v[10:13], off offset:224
	;; [unrolled: 1-line block ×8, first 2 shown]
	s_cbranch_scc1 .LBB20_78
; %bb.8:
	v_mad_u64_u32 v[5:6], null, s26, v0, 0
	s_bfe_i64 s[2:3], s[26:27], 0x200000
	s_mov_b32 s2, 0
	s_delay_alu instid0(VALU_DEP_1) | instskip(NEXT) | instid1(VALU_DEP_1)
	v_mov_b32_e32 v3, v6
	v_mad_u64_u32 v[6:7], null, s3, v0, v[3:4]
	v_ashrrev_i32_e32 v3, 31, v2
	s_mov_b32 s3, s8
	s_delay_alu instid0(VALU_DEP_1) | instskip(NEXT) | instid1(VALU_DEP_3)
	v_lshlrev_b64 v[7:8], 1, v[2:3]
	v_lshlrev_b64 v[5:6], 1, v[5:6]
	s_delay_alu instid0(VALU_DEP_1) | instskip(NEXT) | instid1(VALU_DEP_2)
	v_add_co_u32 v3, vcc_lo, s16, v5
	v_add_co_ci_u32_e32 v6, vcc_lo, s17, v6, vcc_lo
	s_delay_alu instid0(VALU_DEP_2) | instskip(NEXT) | instid1(VALU_DEP_2)
	v_add_co_u32 v5, vcc_lo, v3, v7
	v_add_co_ci_u32_e32 v6, vcc_lo, v6, v8, vcc_lo
	v_add_co_u32 v7, vcc_lo, s18, v7
	v_add_co_ci_u32_e32 v8, vcc_lo, s19, v8, vcc_lo
	.p2align	6
.LBB20_9:                               ; =>This Inner Loop Header: Depth=1
	global_load_u16 v3, v[5:6], off
	global_load_u16 v10, v[7:8], off
	v_add_co_u32 v5, vcc_lo, v5, 2
	v_add_co_ci_u32_e32 v6, vcc_lo, 0, v6, vcc_lo
	v_add_co_u32 v7, vcc_lo, v7, 2
	v_add_co_ci_u32_e32 v8, vcc_lo, 0, v8, vcc_lo
	s_add_i32 s3, s3, -1
	s_add_i32 s4, s2, 0
	s_add_i32 s5, s2, 0x80
	;; [unrolled: 1-line block ×3, first 2 shown]
	s_cmp_lg_u32 s3, 0
	s_waitcnt vmcnt(1)
	v_cvt_f32_f16_e32 v3, v3
	s_waitcnt vmcnt(0)
	v_cvt_f32_f16_e32 v10, v10
	scratch_store_b32 off, v3, s4
	scratch_store_b32 off, v10, s5
	s_cbranch_scc1 .LBB20_9
; %bb.10:
	s_cmp_lt_u32 s8, 4
	s_mov_b32 s2, 0
	s_cbranch_scc1 .LBB20_23
; %bb.11:
	s_and_b32 s2, s8, 0x7ffffffc
	s_or_b32 s3, 0, 8
	s_mov_b32 s4, 0
	s_branch .LBB20_13
.LBB20_12:                              ;   in Loop: Header=BB20_13 Depth=1
	s_or_b32 exec_lo, exec_lo, s6
	s_add_i32 s4, s4, 4
	s_add_i32 s3, s3, 16
	s_cmp_lg_u32 s2, s4
	scratch_store_b32 off, v5, s5
	s_cbranch_scc0 .LBB20_23
.LBB20_13:                              ; =>This Inner Loop Header: Depth=1
	scratch_load_b32 v5, off, s3 offset:-8
	v_dual_mov_b32 v3, 0 :: v_dual_mov_b32 v6, 0
	s_mov_b32 s5, exec_lo
	s_waitcnt vmcnt(0)
	v_cmpx_o_f32_e32 v5, v5
	s_cbranch_execz .LBB20_15
; %bb.14:                               ;   in Loop: Header=BB20_13 Depth=1
	v_mul_f32_e32 v6, 0xbfb8aa3b, v5
	v_cmp_nlt_f32_e32 vcc_lo, 0x42ce8ed0, v5
	s_delay_alu instid0(VALU_DEP_2) | instskip(SKIP_1) | instid1(VALU_DEP_2)
	v_rndne_f32_e32 v7, v6
	v_fma_f32 v8, 0xbfb8aa3b, v5, -v6
	v_sub_f32_e32 v6, v6, v7
	s_delay_alu instid0(VALU_DEP_2) | instskip(SKIP_1) | instid1(VALU_DEP_2)
	v_fmac_f32_e32 v8, 0xb2a5705f, v5
	v_cvt_i32_f32_e32 v7, v7
	v_add_f32_e32 v6, v6, v8
	s_delay_alu instid0(VALU_DEP_1) | instskip(SKIP_2) | instid1(VALU_DEP_1)
	v_exp_f32_e32 v6, v6
	s_waitcnt_depctr 0xfff
	v_ldexp_f32 v6, v6, v7
	v_cndmask_b32_e32 v6, 0, v6, vcc_lo
	v_cmp_ngt_f32_e32 vcc_lo, 0xc2b17218, v5
	s_delay_alu instid0(VALU_DEP_2) | instskip(NEXT) | instid1(VALU_DEP_1)
	v_cndmask_b32_e32 v5, 0x7f800000, v6, vcc_lo
	v_add_f32_e32 v5, 1.0, v5
	s_delay_alu instid0(VALU_DEP_1) | instskip(NEXT) | instid1(VALU_DEP_1)
	v_div_scale_f32 v6, null, v5, v5, 1.0
	v_rcp_f32_e32 v7, v6
	s_waitcnt_depctr 0xfff
	v_fma_f32 v8, -v6, v7, 1.0
	s_delay_alu instid0(VALU_DEP_1) | instskip(SKIP_1) | instid1(VALU_DEP_1)
	v_fmac_f32_e32 v7, v8, v7
	v_div_scale_f32 v8, vcc_lo, 1.0, v5, 1.0
	v_mul_f32_e32 v10, v8, v7
	s_delay_alu instid0(VALU_DEP_1) | instskip(NEXT) | instid1(VALU_DEP_1)
	v_fma_f32 v11, -v6, v10, v8
	v_fmac_f32_e32 v10, v11, v7
	s_delay_alu instid0(VALU_DEP_1) | instskip(NEXT) | instid1(VALU_DEP_1)
	v_fma_f32 v6, -v6, v10, v8
	v_div_fmas_f32 v6, v6, v7, v10
	s_delay_alu instid0(VALU_DEP_1)
	v_div_fixup_f32 v6, v6, v5, 1.0
.LBB20_15:                              ;   in Loop: Header=BB20_13 Depth=1
	s_or_b32 exec_lo, exec_lo, s5
	scratch_load_b32 v5, off, s3 offset:-4
	s_mov_b32 s5, exec_lo
	scratch_store_b32 off, v6, s3 offset:-8
	s_waitcnt vmcnt(0)
	v_cmpx_o_f32_e32 v5, v5
	s_cbranch_execz .LBB20_17
; %bb.16:                               ;   in Loop: Header=BB20_13 Depth=1
	v_mul_f32_e32 v3, 0xbfb8aa3b, v5
	v_cmp_nlt_f32_e32 vcc_lo, 0x42ce8ed0, v5
	s_delay_alu instid0(VALU_DEP_2) | instskip(SKIP_1) | instid1(VALU_DEP_2)
	v_rndne_f32_e32 v6, v3
	v_fma_f32 v7, 0xbfb8aa3b, v5, -v3
	v_sub_f32_e32 v3, v3, v6
	s_delay_alu instid0(VALU_DEP_2) | instskip(SKIP_1) | instid1(VALU_DEP_2)
	v_fmac_f32_e32 v7, 0xb2a5705f, v5
	v_cvt_i32_f32_e32 v6, v6
	v_add_f32_e32 v3, v3, v7
	s_delay_alu instid0(VALU_DEP_1) | instskip(SKIP_2) | instid1(VALU_DEP_1)
	v_exp_f32_e32 v3, v3
	s_waitcnt_depctr 0xfff
	v_ldexp_f32 v3, v3, v6
	v_cndmask_b32_e32 v3, 0, v3, vcc_lo
	v_cmp_ngt_f32_e32 vcc_lo, 0xc2b17218, v5
	s_delay_alu instid0(VALU_DEP_2) | instskip(NEXT) | instid1(VALU_DEP_1)
	v_cndmask_b32_e32 v3, 0x7f800000, v3, vcc_lo
	v_add_f32_e32 v3, 1.0, v3
	s_delay_alu instid0(VALU_DEP_1) | instskip(NEXT) | instid1(VALU_DEP_1)
	v_div_scale_f32 v5, null, v3, v3, 1.0
	v_rcp_f32_e32 v6, v5
	s_waitcnt_depctr 0xfff
	v_fma_f32 v7, -v5, v6, 1.0
	s_delay_alu instid0(VALU_DEP_1) | instskip(SKIP_1) | instid1(VALU_DEP_1)
	v_fmac_f32_e32 v6, v7, v6
	v_div_scale_f32 v7, vcc_lo, 1.0, v3, 1.0
	v_mul_f32_e32 v8, v7, v6
	s_delay_alu instid0(VALU_DEP_1) | instskip(NEXT) | instid1(VALU_DEP_1)
	v_fma_f32 v10, -v5, v8, v7
	v_fmac_f32_e32 v8, v10, v6
	s_delay_alu instid0(VALU_DEP_1) | instskip(NEXT) | instid1(VALU_DEP_1)
	v_fma_f32 v5, -v5, v8, v7
	v_div_fmas_f32 v5, v5, v6, v8
	s_delay_alu instid0(VALU_DEP_1)
	v_div_fixup_f32 v3, v5, v3, 1.0
.LBB20_17:                              ;   in Loop: Header=BB20_13 Depth=1
	s_or_b32 exec_lo, exec_lo, s5
	scratch_load_b32 v6, off, s3
	v_mov_b32_e32 v5, 0
	v_mov_b32_e32 v7, 0
	s_mov_b32 s5, exec_lo
	scratch_store_b32 off, v3, s3 offset:-4
	s_waitcnt vmcnt(0)
	v_cmpx_o_f32_e32 v6, v6
	s_cbranch_execz .LBB20_19
; %bb.18:                               ;   in Loop: Header=BB20_13 Depth=1
	v_mul_f32_e32 v3, 0xbfb8aa3b, v6
	v_cmp_nlt_f32_e32 vcc_lo, 0x42ce8ed0, v6
	s_delay_alu instid0(VALU_DEP_2) | instskip(SKIP_1) | instid1(VALU_DEP_1)
	v_rndne_f32_e32 v7, v3
	v_fma_f32 v8, 0xbfb8aa3b, v6, -v3
	v_dual_sub_f32 v3, v3, v7 :: v_dual_fmac_f32 v8, 0xb2a5705f, v6
	v_cvt_i32_f32_e32 v7, v7
	s_delay_alu instid0(VALU_DEP_2) | instskip(NEXT) | instid1(VALU_DEP_1)
	v_add_f32_e32 v3, v3, v8
	v_exp_f32_e32 v3, v3
	s_waitcnt_depctr 0xfff
	v_ldexp_f32 v3, v3, v7
	s_delay_alu instid0(VALU_DEP_1) | instskip(SKIP_1) | instid1(VALU_DEP_2)
	v_cndmask_b32_e32 v3, 0, v3, vcc_lo
	v_cmp_ngt_f32_e32 vcc_lo, 0xc2b17218, v6
	v_cndmask_b32_e32 v3, 0x7f800000, v3, vcc_lo
	s_delay_alu instid0(VALU_DEP_1) | instskip(NEXT) | instid1(VALU_DEP_1)
	v_add_f32_e32 v3, 1.0, v3
	v_div_scale_f32 v6, null, v3, v3, 1.0
	s_delay_alu instid0(VALU_DEP_1) | instskip(SKIP_2) | instid1(VALU_DEP_1)
	v_rcp_f32_e32 v7, v6
	s_waitcnt_depctr 0xfff
	v_fma_f32 v8, -v6, v7, 1.0
	v_fmac_f32_e32 v7, v8, v7
	v_div_scale_f32 v8, vcc_lo, 1.0, v3, 1.0
	s_delay_alu instid0(VALU_DEP_1) | instskip(NEXT) | instid1(VALU_DEP_1)
	v_mul_f32_e32 v10, v8, v7
	v_fma_f32 v11, -v6, v10, v8
	s_delay_alu instid0(VALU_DEP_1) | instskip(NEXT) | instid1(VALU_DEP_1)
	v_fmac_f32_e32 v10, v11, v7
	v_fma_f32 v6, -v6, v10, v8
	s_delay_alu instid0(VALU_DEP_1) | instskip(NEXT) | instid1(VALU_DEP_1)
	v_div_fmas_f32 v6, v6, v7, v10
	v_div_fixup_f32 v7, v6, v3, 1.0
.LBB20_19:                              ;   in Loop: Header=BB20_13 Depth=1
	s_or_b32 exec_lo, exec_lo, s5
	s_add_i32 s5, s3, 4
	s_mov_b32 s6, exec_lo
	scratch_load_b32 v3, off, s5
	scratch_store_b32 off, v7, s3
	s_waitcnt vmcnt(0)
	v_cmpx_o_f32_e32 v3, v3
	s_cbranch_execz .LBB20_12
; %bb.20:                               ;   in Loop: Header=BB20_13 Depth=1
	v_mul_f32_e32 v5, 0xbfb8aa3b, v3
	v_cmp_nlt_f32_e32 vcc_lo, 0x42ce8ed0, v3
	s_delay_alu instid0(VALU_DEP_2) | instskip(SKIP_1) | instid1(VALU_DEP_2)
	v_rndne_f32_e32 v6, v5
	v_fma_f32 v7, 0xbfb8aa3b, v3, -v5
	v_sub_f32_e32 v5, v5, v6
	s_delay_alu instid0(VALU_DEP_2) | instskip(SKIP_1) | instid1(VALU_DEP_2)
	v_fmac_f32_e32 v7, 0xb2a5705f, v3
	v_cvt_i32_f32_e32 v6, v6
	v_add_f32_e32 v5, v5, v7
	s_delay_alu instid0(VALU_DEP_1) | instskip(SKIP_2) | instid1(VALU_DEP_1)
	v_exp_f32_e32 v5, v5
	s_waitcnt_depctr 0xfff
	v_ldexp_f32 v5, v5, v6
	v_cndmask_b32_e32 v5, 0, v5, vcc_lo
	v_cmp_ngt_f32_e32 vcc_lo, 0xc2b17218, v3
	s_delay_alu instid0(VALU_DEP_2) | instskip(NEXT) | instid1(VALU_DEP_1)
	v_cndmask_b32_e32 v3, 0x7f800000, v5, vcc_lo
	v_add_f32_e32 v3, 1.0, v3
	s_delay_alu instid0(VALU_DEP_1) | instskip(NEXT) | instid1(VALU_DEP_1)
	v_div_scale_f32 v5, null, v3, v3, 1.0
	v_rcp_f32_e32 v6, v5
	s_waitcnt_depctr 0xfff
	v_fma_f32 v7, -v5, v6, 1.0
	s_delay_alu instid0(VALU_DEP_1) | instskip(SKIP_1) | instid1(VALU_DEP_1)
	v_fmac_f32_e32 v6, v7, v6
	v_div_scale_f32 v7, vcc_lo, 1.0, v3, 1.0
	v_mul_f32_e32 v8, v7, v6
	s_delay_alu instid0(VALU_DEP_1) | instskip(NEXT) | instid1(VALU_DEP_1)
	v_fma_f32 v10, -v5, v8, v7
	v_fmac_f32_e32 v8, v10, v6
	s_delay_alu instid0(VALU_DEP_1) | instskip(NEXT) | instid1(VALU_DEP_1)
	v_fma_f32 v5, -v5, v8, v7
	v_div_fmas_f32 v5, v5, v6, v8
	s_delay_alu instid0(VALU_DEP_1)
	v_div_fixup_f32 v5, v5, v3, 1.0
	s_branch .LBB20_12
.LBB20_21:
                                        ; implicit-def: $sgpr8_sgpr9
	s_branch .LBB20_2
.LBB20_22:
                                        ; implicit-def: $sgpr6_sgpr7
	s_branch .LBB20_5
.LBB20_23:
	s_and_b32 s3, s8, 3
	s_mov_b32 s5, 0
	s_cmp_eq_u32 s3, 0
	s_cbranch_scc1 .LBB20_28
; %bb.24:
	s_lshl_b32 s2, s2, 2
	s_delay_alu instid0(SALU_CYCLE_1)
	v_add_nc_u32_e64 v3, s2, 0
	s_branch .LBB20_26
.LBB20_25:                              ;   in Loop: Header=BB20_26 Depth=1
	s_or_b32 exec_lo, exec_lo, s2
	scratch_store_b32 v3, v6, off
	v_add_nc_u32_e32 v3, 4, v3
	s_add_i32 s3, s3, -1
	s_delay_alu instid0(SALU_CYCLE_1)
	s_cmp_lg_u32 s3, 0
	s_cbranch_scc0 .LBB20_28
.LBB20_26:                              ; =>This Inner Loop Header: Depth=1
	scratch_load_b32 v5, v3, off
	v_mov_b32_e32 v6, 0
	s_mov_b32 s2, exec_lo
	s_waitcnt vmcnt(0)
	v_cmpx_o_f32_e32 v5, v5
	s_cbranch_execz .LBB20_25
; %bb.27:                               ;   in Loop: Header=BB20_26 Depth=1
	v_mul_f32_e32 v6, 0xbfb8aa3b, v5
	v_cmp_nlt_f32_e32 vcc_lo, 0x42ce8ed0, v5
	s_delay_alu instid0(VALU_DEP_2) | instskip(SKIP_1) | instid1(VALU_DEP_2)
	v_rndne_f32_e32 v7, v6
	v_fma_f32 v8, 0xbfb8aa3b, v5, -v6
	v_sub_f32_e32 v6, v6, v7
	s_delay_alu instid0(VALU_DEP_2) | instskip(SKIP_1) | instid1(VALU_DEP_2)
	v_fmac_f32_e32 v8, 0xb2a5705f, v5
	v_cvt_i32_f32_e32 v7, v7
	v_add_f32_e32 v6, v6, v8
	s_delay_alu instid0(VALU_DEP_1) | instskip(SKIP_2) | instid1(VALU_DEP_1)
	v_exp_f32_e32 v6, v6
	s_waitcnt_depctr 0xfff
	v_ldexp_f32 v6, v6, v7
	v_cndmask_b32_e32 v6, 0, v6, vcc_lo
	v_cmp_ngt_f32_e32 vcc_lo, 0xc2b17218, v5
	s_delay_alu instid0(VALU_DEP_2) | instskip(NEXT) | instid1(VALU_DEP_1)
	v_cndmask_b32_e32 v5, 0x7f800000, v6, vcc_lo
	v_add_f32_e32 v5, 1.0, v5
	s_delay_alu instid0(VALU_DEP_1) | instskip(NEXT) | instid1(VALU_DEP_1)
	v_div_scale_f32 v6, null, v5, v5, 1.0
	v_rcp_f32_e32 v7, v6
	s_waitcnt_depctr 0xfff
	v_fma_f32 v8, -v6, v7, 1.0
	s_delay_alu instid0(VALU_DEP_1) | instskip(SKIP_1) | instid1(VALU_DEP_1)
	v_fmac_f32_e32 v7, v8, v7
	v_div_scale_f32 v8, vcc_lo, 1.0, v5, 1.0
	v_mul_f32_e32 v10, v8, v7
	s_delay_alu instid0(VALU_DEP_1) | instskip(NEXT) | instid1(VALU_DEP_1)
	v_fma_f32 v11, -v6, v10, v8
	v_fmac_f32_e32 v10, v11, v7
	s_delay_alu instid0(VALU_DEP_1) | instskip(NEXT) | instid1(VALU_DEP_1)
	v_fma_f32 v6, -v6, v10, v8
	v_div_fmas_f32 v6, v6, v7, v10
	s_delay_alu instid0(VALU_DEP_1)
	v_div_fixup_f32 v6, v6, v5, 1.0
	s_branch .LBB20_25
.LBB20_28:
	s_cmp_gt_u32 s8, 7
	s_cselect_b32 s6, -1, 0
	s_cmp_lt_u32 s8, 8
	s_cbranch_scc1 .LBB20_31
; %bb.29:
	s_and_b32 s5, s8, 0x7ffffff8
	s_mov_b32 s2, 0
	s_mov_b32 s3, 0
	s_set_inst_prefetch_distance 0x1
	.p2align	6
.LBB20_30:                              ; =>This Inner Loop Header: Depth=1
	s_add_i32 s4, s2, 0
	s_add_i32 s7, s2, 0x80
	scratch_load_b128 v[5:8], off, s4
	scratch_load_b128 v[10:13], off, s7
	v_add_nc_u32_e64 v3, s2, 0
	v_add_nc_u32_e64 v14, 0x80, s2
	s_add_i32 s3, s3, 8
	s_add_i32 s2, s2, 32
	s_cmp_lg_u32 s5, s3
	v_add_nc_u32_e32 v3, 16, v3
	s_waitcnt vmcnt(0)
	v_dual_add_f32 v7, v7, v12 :: v_dual_add_nc_u32 v22, 16, v14
	v_add_f32_e32 v8, v8, v13
	scratch_load_b128 v[14:17], v3, off
	scratch_load_b128 v[18:21], v22, off
	v_dual_add_f32 v5, v5, v10 :: v_dual_add_f32 v6, v6, v11
	s_waitcnt vmcnt(0)
	v_dual_add_f32 v10, v14, v18 :: v_dual_add_f32 v11, v15, v19
	v_dual_add_f32 v12, v16, v20 :: v_dual_add_f32 v13, v17, v21
	s_clause 0x1
	scratch_store_b128 off, v[5:8], s7
	scratch_store_b128 v22, v[10:13], off
	s_cbranch_scc1 .LBB20_30
.LBB20_31:
	s_set_inst_prefetch_distance 0x2
	s_and_b32 s2, s8, 7
	s_mov_b32 s4, 0
	s_cmp_lg_u32 s2, 0
	s_cselect_b32 s3, -1, 0
	s_cmp_eq_u32 s2, 0
	s_cbranch_scc1 .LBB20_34
; %bb.32:
	s_lshl_b32 s5, s5, 2
	s_delay_alu instid0(SALU_CYCLE_1)
	v_add_nc_u32_e64 v3, 0x80, s5
	v_add_nc_u32_e64 v5, s5, 0
	s_mov_b32 s5, s2
.LBB20_33:                              ; =>This Inner Loop Header: Depth=1
	scratch_load_b32 v6, v5, off
	scratch_load_b32 v7, v3, off
	s_add_i32 s5, s5, -1
	v_add_nc_u32_e32 v5, 4, v5
	s_cmp_lg_u32 s5, 0
	s_waitcnt vmcnt(0)
	v_add_f32_e32 v6, v6, v7
	scratch_store_b32 v3, v6, off
	v_add_nc_u32_e32 v3, 4, v3
	s_cbranch_scc1 .LBB20_33
.LBB20_34:
	v_mov_b32_e32 v6, 0xff7fffff
	s_and_not1_b32 vcc_lo, exec_lo, s6
	s_cbranch_vccnz .LBB20_69
; %bb.35:
	v_add_nc_u32_e64 v3, 0x80, 28
	v_dual_mov_b32 v5, 0xff7fffff :: v_dual_mov_b32 v6, 0xff7fffff
	s_and_b32 s4, s8, 0x7ffffff8
	s_mov_b32 s5, 0
	s_branch .LBB20_38
.LBB20_36:                              ;   in Loop: Header=BB20_38 Depth=1
	s_or_b32 exec_lo, exec_lo, s7
	s_delay_alu instid0(VALU_DEP_1)
	v_dual_mov_b32 v6, v10 :: v_dual_mov_b32 v5, v7
.LBB20_37:                              ;   in Loop: Header=BB20_38 Depth=1
	s_or_b32 exec_lo, exec_lo, s6
	v_add_nc_u32_e32 v3, 32, v3
	s_add_i32 s5, s5, 8
	s_delay_alu instid0(SALU_CYCLE_1)
	s_cmp_eq_u32 s4, s5
	s_cbranch_scc1 .LBB20_70
.LBB20_38:                              ; =>This Inner Loop Header: Depth=1
	scratch_load_b32 v7, v3, off offset:-28
	v_mov_b32_e32 v8, v5
	s_mov_b32 s6, exec_lo
	s_waitcnt vmcnt(0)
	v_cmpx_ngt_f32_e32 v7, v5
	s_cbranch_execz .LBB20_42
; %bb.39:                               ;   in Loop: Header=BB20_38 Depth=1
	s_mov_b32 s7, exec_lo
	v_cmpx_gt_f32_e32 v7, v6
; %bb.40:                               ;   in Loop: Header=BB20_38 Depth=1
	v_mov_b32_e32 v6, v7
; %bb.41:                               ;   in Loop: Header=BB20_38 Depth=1
	s_or_b32 exec_lo, exec_lo, s7
	s_delay_alu instid0(VALU_DEP_1)
	v_dual_mov_b32 v8, v6 :: v_dual_mov_b32 v7, v5
.LBB20_42:                              ;   in Loop: Header=BB20_38 Depth=1
	s_or_b32 exec_lo, exec_lo, s6
	scratch_load_b32 v5, v3, off offset:-24
	v_mov_b32_e32 v10, v7
	s_mov_b32 s6, exec_lo
	s_waitcnt vmcnt(0)
	v_cmpx_ngt_f32_e32 v5, v7
	s_cbranch_execz .LBB20_46
; %bb.43:                               ;   in Loop: Header=BB20_38 Depth=1
	s_mov_b32 s7, exec_lo
	v_cmpx_gt_f32_e32 v5, v8
; %bb.44:                               ;   in Loop: Header=BB20_38 Depth=1
	v_mov_b32_e32 v8, v5
; %bb.45:                               ;   in Loop: Header=BB20_38 Depth=1
	s_or_b32 exec_lo, exec_lo, s7
	s_delay_alu instid0(VALU_DEP_1)
	v_dual_mov_b32 v10, v8 :: v_dual_mov_b32 v5, v7
.LBB20_46:                              ;   in Loop: Header=BB20_38 Depth=1
	s_or_b32 exec_lo, exec_lo, s6
	;; [unrolled: 17-line block ×7, first 2 shown]
	scratch_load_b32 v5, v3, off
	v_mov_b32_e32 v6, v7
	s_mov_b32 s6, exec_lo
	s_waitcnt vmcnt(0)
	v_cmpx_ngt_f32_e32 v5, v7
	s_cbranch_execz .LBB20_37
; %bb.67:                               ;   in Loop: Header=BB20_38 Depth=1
	s_mov_b32 s7, exec_lo
	v_cmpx_gt_f32_e32 v5, v10
	s_cbranch_execz .LBB20_36
; %bb.68:                               ;   in Loop: Header=BB20_38 Depth=1
	v_mov_b32_e32 v10, v5
	s_branch .LBB20_36
.LBB20_69:
	v_mov_b32_e32 v5, 0xff7fffff
.LBB20_70:
	s_and_not1_b32 vcc_lo, exec_lo, s3
	s_cbranch_vccnz .LBB20_77
; %bb.71:
	s_lshl_b32 s3, s4, 2
	s_delay_alu instid0(SALU_CYCLE_1)
	v_add_nc_u32_e64 v3, 0x80, s3
	s_branch .LBB20_74
	.p2align	6
.LBB20_72:                              ;   in Loop: Header=BB20_74 Depth=1
	s_or_b32 exec_lo, exec_lo, s4
	s_delay_alu instid0(VALU_DEP_1)
	v_dual_mov_b32 v8, v6 :: v_dual_mov_b32 v7, v5
.LBB20_73:                              ;   in Loop: Header=BB20_74 Depth=1
	s_or_b32 exec_lo, exec_lo, s3
	s_delay_alu instid0(VALU_DEP_1) | instskip(NEXT) | instid1(VALU_DEP_2)
	v_dual_mov_b32 v6, v8 :: v_dual_add_nc_u32 v3, 4, v3
	v_mov_b32_e32 v5, v7
	s_add_i32 s2, s2, -1
	s_delay_alu instid0(SALU_CYCLE_1)
	s_cmp_lg_u32 s2, 0
	s_cbranch_scc0 .LBB20_77
.LBB20_74:                              ; =>This Inner Loop Header: Depth=1
	scratch_load_b32 v7, v3, off
	v_mov_b32_e32 v8, v5
	s_mov_b32 s3, exec_lo
	s_waitcnt vmcnt(0)
	v_cmpx_ngt_f32_e32 v7, v5
	s_cbranch_execz .LBB20_73
; %bb.75:                               ;   in Loop: Header=BB20_74 Depth=1
	s_mov_b32 s4, exec_lo
	v_cmpx_gt_f32_e32 v7, v6
	s_cbranch_execz .LBB20_72
; %bb.76:                               ;   in Loop: Header=BB20_74 Depth=1
	v_mov_b32_e32 v6, v7
	s_branch .LBB20_72
.LBB20_77:
	scratch_load_b32 v3, off, off offset:128
.LBB20_78:
	s_bfe_i64 s[2:3], s[28:29], 0x200000
	s_delay_alu instid0(SALU_CYCLE_1) | instskip(SKIP_1) | instid1(SALU_CYCLE_1)
	s_sub_u32 s4, s2, s30
	s_subb_u32 s5, s3, s31
	v_cmp_lt_i64_e64 s2, s[4:5], 1
	s_delay_alu instid0(VALU_DEP_1)
	s_and_b32 vcc_lo, exec_lo, s2
	s_cbranch_vccnz .LBB20_113
; %bb.79:
	s_abs_i32 s9, s8
	s_ashr_i32 s10, s8, 31
	v_cvt_f32_u32_e32 v7, s9
	s_sub_i32 s2, 0, s9
	s_mov_b64 s[6:7], 0
	s_mov_b32 s11, 0x76543210
	s_delay_alu instid0(VALU_DEP_1) | instskip(SKIP_2) | instid1(VALU_DEP_1)
	v_rcp_iflag_f32_e32 v7, v7
	s_waitcnt_depctr 0xfff
	v_mul_f32_e32 v7, 0x4f7ffffe, v7
	v_cvt_u32_f32_e32 v7, v7
	s_delay_alu instid0(VALU_DEP_1) | instskip(NEXT) | instid1(VALU_DEP_1)
	v_mul_lo_u32 v8, s2, v7
	v_mul_hi_u32 v8, v7, v8
	s_delay_alu instid0(VALU_DEP_1)
	v_dual_add_f32 v5, v6, v5 :: v_dual_add_nc_u32 v6, v7, v8
	s_branch .LBB20_82
.LBB20_80:                              ;   in Loop: Header=BB20_82 Depth=1
	s_or_b32 exec_lo, exec_lo, s2
.LBB20_81:                              ;   in Loop: Header=BB20_82 Depth=1
	s_delay_alu instid0(VALU_DEP_1) | instskip(SKIP_2) | instid1(SALU_CYCLE_1)
	v_sub_nc_u32_e32 v8, 0, v7
	s_add_u32 s6, s6, 1
	s_addc_u32 s7, s7, 0
	v_cmp_le_u64_e64 s2, s[4:5], s[6:7]
	s_delay_alu instid0(VALU_DEP_2) | instskip(SKIP_1) | instid1(VALU_DEP_2)
	v_max_i32_e32 v8, v7, v8
	v_ashrrev_i32_e32 v7, 31, v7
	v_mul_hi_u32 v10, v8, v6
	s_delay_alu instid0(VALU_DEP_2) | instskip(NEXT) | instid1(VALU_DEP_2)
	v_xor_b32_e32 v7, s10, v7
	v_mul_lo_u32 v11, v10, s9
	s_delay_alu instid0(VALU_DEP_1) | instskip(NEXT) | instid1(VALU_DEP_1)
	v_sub_nc_u32_e32 v8, v8, v11
	v_subrev_nc_u32_e32 v12, s9, v8
	v_cmp_le_u32_e32 vcc_lo, s9, v8
	s_delay_alu instid0(VALU_DEP_2) | instskip(NEXT) | instid1(VALU_DEP_1)
	v_dual_cndmask_b32 v8, v8, v12 :: v_dual_add_nc_u32 v11, 1, v10
	v_cndmask_b32_e32 v10, v10, v11, vcc_lo
	s_delay_alu instid0(VALU_DEP_2) | instskip(NEXT) | instid1(VALU_DEP_2)
	v_cmp_le_u32_e32 vcc_lo, s9, v8
	v_add_nc_u32_e32 v11, 1, v10
	s_delay_alu instid0(VALU_DEP_1) | instskip(NEXT) | instid1(VALU_DEP_1)
	v_cndmask_b32_e32 v8, v10, v11, vcc_lo
	v_xor_b32_e32 v8, v8, v7
	s_delay_alu instid0(VALU_DEP_1) | instskip(NEXT) | instid1(VALU_DEP_1)
	v_sub_nc_u32_e32 v7, v8, v7
	v_cmp_eq_u32_e32 vcc_lo, v9, v7
	s_waitcnt vmcnt(0)
	v_cndmask_b32_e64 v3, v3, 0x7f7fffff, vcc_lo
	v_cndmask_b32_e64 v5, v5, 0x7f7fffff, vcc_lo
	s_and_b32 vcc_lo, exec_lo, s2
	s_cbranch_vccnz .LBB20_113
.LBB20_82:                              ; =>This Inner Loop Header: Depth=1
	s_cmp_lt_i32 s28, 8
	s_cbranch_scc1 .LBB20_90
; %bb.83:                               ;   in Loop: Header=BB20_82 Depth=1
	s_cmp_lt_i32 s28, 16
	s_cbranch_scc1 .LBB20_91
; %bb.84:                               ;   in Loop: Header=BB20_82 Depth=1
	;; [unrolled: 3-line block ×3, first 2 shown]
	v_mov_b32_e32 v7, v2
	s_cmp_eq_u32 s28, 32
	s_cbranch_scc0 .LBB20_89
; %bb.86:                               ;   in Loop: Header=BB20_82 Depth=1
	s_delay_alu instid0(VALU_DEP_1) | instskip(SKIP_1) | instid1(VALU_DEP_2)
	v_mov_b32_dpp v7, v5 quad_perm:[1,0,3,2] row_mask:0xf bank_mask:0xf
	v_mov_b32_dpp v8, v2 quad_perm:[1,0,3,2] row_mask:0xf bank_mask:0xf
	v_cmp_eq_f32_e32 vcc_lo, v5, v7
	s_delay_alu instid0(VALU_DEP_2) | instskip(SKIP_1) | instid1(VALU_DEP_2)
	v_cmp_lt_i32_e64 s2, v2, v8
	v_cmp_lt_f32_e64 s3, v5, v7
	s_and_b32 s2, vcc_lo, s2
	s_delay_alu instid0(VALU_DEP_1) | instid1(SALU_CYCLE_1)
	s_or_b32 vcc_lo, s3, s2
	v_dual_cndmask_b32 v7, v7, v5 :: v_dual_cndmask_b32 v8, v8, v2
	s_delay_alu instid0(VALU_DEP_1) | instskip(NEXT) | instid1(VALU_DEP_2)
	v_mov_b32_dpp v10, v7 quad_perm:[2,3,0,1] row_mask:0xf bank_mask:0xf
	v_mov_b32_dpp v11, v8 quad_perm:[2,3,0,1] row_mask:0xf bank_mask:0xf
	s_delay_alu instid0(VALU_DEP_2) | instskip(NEXT) | instid1(VALU_DEP_2)
	v_cmp_eq_f32_e32 vcc_lo, v7, v10
	v_cmp_lt_i32_e64 s2, v8, v11
	s_delay_alu instid0(VALU_DEP_1) | instskip(SKIP_2) | instid1(VALU_DEP_2)
	s_and_b32 vcc_lo, vcc_lo, s2
	v_cmp_lt_f32_e64 s2, v7, v10
	v_cndmask_b32_e32 v12, v10, v7, vcc_lo
	s_or_b32 vcc_lo, s2, vcc_lo
	s_delay_alu instid0(VALU_DEP_1) | instskip(SKIP_1) | instid1(VALU_DEP_2)
	v_cndmask_b32_e64 v7, v12, v7, s2
	v_cndmask_b32_e32 v8, v11, v8, vcc_lo
	v_mov_b32_dpp v10, v7 row_xmask:7 row_mask:0xf bank_mask:0xf
	s_delay_alu instid0(VALU_DEP_2) | instskip(NEXT) | instid1(VALU_DEP_2)
	v_mov_b32_dpp v11, v8 row_xmask:7 row_mask:0xf bank_mask:0xf
	v_cmp_eq_f32_e32 vcc_lo, v7, v10
	s_delay_alu instid0(VALU_DEP_2) | instskip(NEXT) | instid1(VALU_DEP_1)
	v_cmp_lt_i32_e64 s2, v8, v11
	s_and_b32 vcc_lo, vcc_lo, s2
	v_cmp_lt_f32_e64 s2, v7, v10
	v_cndmask_b32_e32 v12, v10, v7, vcc_lo
	s_delay_alu instid0(VALU_DEP_2) | instskip(NEXT) | instid1(VALU_DEP_1)
	s_or_b32 vcc_lo, s2, vcc_lo
	v_cndmask_b32_e64 v7, v12, v7, s2
	v_cndmask_b32_e32 v11, v11, v8, vcc_lo
	s_delay_alu instid0(VALU_DEP_2) | instskip(NEXT) | instid1(VALU_DEP_2)
	v_mov_b32_dpp v8, v7 row_xmask:15 row_mask:0xf bank_mask:0xf
	v_mov_b32_dpp v12, v11 row_xmask:15 row_mask:0xf bank_mask:0xf
	s_delay_alu instid0(VALU_DEP_2) | instskip(NEXT) | instid1(VALU_DEP_2)
	v_cmp_eq_f32_e32 vcc_lo, v7, v8
	v_cmp_lt_i32_e64 s2, v11, v12
	s_delay_alu instid0(VALU_DEP_1) | instskip(SKIP_2) | instid1(VALU_DEP_2)
	s_and_b32 vcc_lo, vcc_lo, s2
	v_cmp_lt_f32_e64 s2, v7, v8
	v_cndmask_b32_e32 v10, v8, v7, vcc_lo
	s_or_b32 vcc_lo, s2, vcc_lo
	s_delay_alu instid0(VALU_DEP_1) | instskip(SKIP_2) | instid1(VALU_DEP_2)
	v_cndmask_b32_e64 v8, v10, v7, s2
	v_cndmask_b32_e32 v7, v12, v11, vcc_lo
	s_mov_b32 s2, exec_lo
	v_permlanex16_b32 v10, v8, s11, 0xfedcba98 op_sel:[1,1]
	s_delay_alu instid0(VALU_DEP_1)
	v_cmpx_nlt_f32_e32 v8, v10
; %bb.87:                               ;   in Loop: Header=BB20_82 Depth=1
	s_delay_alu instid0(VALU_DEP_3) | instskip(NEXT) | instid1(VALU_DEP_1)
	v_mov_b32_e32 v7, v7
	v_permlanex16_b32 v11, v7, s11, 0xfedcba98 op_sel:[1,1]
	v_cmp_eq_f32_e32 vcc_lo, v8, v10
	s_delay_alu instid0(VALU_DEP_2) | instskip(NEXT) | instid1(VALU_DEP_1)
	v_min_i32_e32 v7, v7, v11
	v_cndmask_b32_e32 v7, v11, v7, vcc_lo
; %bb.88:                               ;   in Loop: Header=BB20_82 Depth=1
	s_or_b32 exec_lo, exec_lo, s2
.LBB20_89:                              ;   in Loop: Header=BB20_82 Depth=1
	s_cbranch_execz .LBB20_93
	s_branch .LBB20_97
.LBB20_90:                              ;   in Loop: Header=BB20_82 Depth=1
                                        ; implicit-def: $vgpr7
	s_branch .LBB20_103
.LBB20_91:                              ;   in Loop: Header=BB20_82 Depth=1
                                        ; implicit-def: $vgpr7
	s_branch .LBB20_98
.LBB20_92:                              ;   in Loop: Header=BB20_82 Depth=1
                                        ; implicit-def: $vgpr7
.LBB20_93:                              ;   in Loop: Header=BB20_82 Depth=1
	v_mov_b32_e32 v7, v2
	s_cmp_eq_u32 s28, 16
	s_cbranch_scc0 .LBB20_97
; %bb.94:                               ;   in Loop: Header=BB20_82 Depth=1
	s_delay_alu instid0(VALU_DEP_1) | instskip(SKIP_1) | instid1(VALU_DEP_2)
	v_mov_b32_dpp v7, v5 quad_perm:[1,0,3,2] row_mask:0xf bank_mask:0xf
	v_mov_b32_dpp v8, v2 quad_perm:[1,0,3,2] row_mask:0xf bank_mask:0xf
	v_cmp_eq_f32_e32 vcc_lo, v5, v7
	s_delay_alu instid0(VALU_DEP_2) | instskip(SKIP_1) | instid1(VALU_DEP_2)
	v_cmp_lt_i32_e64 s2, v2, v8
	v_cmp_lt_f32_e64 s3, v5, v7
	s_and_b32 s2, vcc_lo, s2
	s_delay_alu instid0(VALU_DEP_1) | instid1(SALU_CYCLE_1)
	s_or_b32 vcc_lo, s3, s2
	v_dual_cndmask_b32 v7, v7, v5 :: v_dual_cndmask_b32 v8, v8, v2
	s_delay_alu instid0(VALU_DEP_1) | instskip(NEXT) | instid1(VALU_DEP_2)
	v_mov_b32_dpp v10, v7 quad_perm:[2,3,0,1] row_mask:0xf bank_mask:0xf
	v_mov_b32_dpp v11, v8 quad_perm:[2,3,0,1] row_mask:0xf bank_mask:0xf
	s_delay_alu instid0(VALU_DEP_2) | instskip(NEXT) | instid1(VALU_DEP_2)
	v_cmp_eq_f32_e32 vcc_lo, v7, v10
	v_cmp_lt_i32_e64 s2, v8, v11
	s_delay_alu instid0(VALU_DEP_1) | instskip(SKIP_2) | instid1(VALU_DEP_2)
	s_and_b32 vcc_lo, vcc_lo, s2
	v_cmp_lt_f32_e64 s2, v7, v10
	v_cndmask_b32_e32 v12, v10, v7, vcc_lo
	s_or_b32 vcc_lo, s2, vcc_lo
	s_delay_alu instid0(VALU_DEP_1) | instskip(SKIP_1) | instid1(VALU_DEP_2)
	v_cndmask_b32_e64 v7, v12, v7, s2
	v_cndmask_b32_e32 v10, v11, v8, vcc_lo
	v_mov_b32_dpp v8, v7 row_half_mirror row_mask:0xf bank_mask:0xf
	s_delay_alu instid0(VALU_DEP_2) | instskip(NEXT) | instid1(VALU_DEP_2)
	v_mov_b32_dpp v11, v10 row_half_mirror row_mask:0xf bank_mask:0xf
	v_cmp_eq_f32_e32 vcc_lo, v7, v8
	s_delay_alu instid0(VALU_DEP_2) | instskip(NEXT) | instid1(VALU_DEP_1)
	v_cmp_lt_i32_e64 s2, v10, v11
	s_and_b32 vcc_lo, vcc_lo, s2
	v_cmp_lt_f32_e64 s2, v7, v8
	v_cndmask_b32_e32 v12, v8, v7, vcc_lo
	s_delay_alu instid0(VALU_DEP_2) | instskip(NEXT) | instid1(VALU_DEP_1)
	s_or_b32 vcc_lo, s2, vcc_lo
	v_cndmask_b32_e64 v8, v12, v7, s2
	v_cndmask_b32_e32 v7, v11, v10, vcc_lo
	s_mov_b32 s2, exec_lo
	s_delay_alu instid0(VALU_DEP_2) | instskip(NEXT) | instid1(VALU_DEP_2)
	v_mov_b32_dpp v11, v8 row_mirror row_mask:0xf bank_mask:0xf
	v_mov_b32_dpp v10, v7 row_mirror row_mask:0xf bank_mask:0xf
	s_delay_alu instid0(VALU_DEP_2)
	v_cmpx_nlt_f32_e32 v8, v11
; %bb.95:                               ;   in Loop: Header=BB20_82 Depth=1
	s_delay_alu instid0(VALU_DEP_2) | instskip(SKIP_1) | instid1(VALU_DEP_2)
	v_min_i32_e32 v7, v7, v10
	v_cmp_eq_f32_e32 vcc_lo, v8, v11
	v_cndmask_b32_e32 v7, v10, v7, vcc_lo
; %bb.96:                               ;   in Loop: Header=BB20_82 Depth=1
	s_or_b32 exec_lo, exec_lo, s2
.LBB20_97:                              ;   in Loop: Header=BB20_82 Depth=1
	s_cbranch_execnz .LBB20_102
.LBB20_98:                              ;   in Loop: Header=BB20_82 Depth=1
	v_mov_b32_e32 v7, v2
	s_cmp_eq_u32 s28, 8
	s_cbranch_scc0 .LBB20_102
; %bb.99:                               ;   in Loop: Header=BB20_82 Depth=1
	s_delay_alu instid0(VALU_DEP_1) | instskip(SKIP_1) | instid1(VALU_DEP_2)
	v_mov_b32_dpp v7, v5 quad_perm:[1,0,3,2] row_mask:0xf bank_mask:0xf
	v_mov_b32_dpp v8, v2 quad_perm:[1,0,3,2] row_mask:0xf bank_mask:0xf
	v_cmp_eq_f32_e32 vcc_lo, v5, v7
	s_delay_alu instid0(VALU_DEP_2) | instskip(SKIP_1) | instid1(VALU_DEP_2)
	v_cmp_lt_i32_e64 s2, v2, v8
	v_cmp_lt_f32_e64 s3, v5, v7
	s_and_b32 s2, vcc_lo, s2
	s_delay_alu instid0(VALU_DEP_1) | instid1(SALU_CYCLE_1)
	s_or_b32 vcc_lo, s3, s2
	v_dual_cndmask_b32 v7, v7, v5 :: v_dual_cndmask_b32 v10, v8, v2
	s_delay_alu instid0(VALU_DEP_1) | instskip(NEXT) | instid1(VALU_DEP_2)
	v_mov_b32_dpp v8, v7 quad_perm:[2,3,0,1] row_mask:0xf bank_mask:0xf
	v_mov_b32_dpp v11, v10 quad_perm:[2,3,0,1] row_mask:0xf bank_mask:0xf
	s_delay_alu instid0(VALU_DEP_2) | instskip(NEXT) | instid1(VALU_DEP_2)
	v_cmp_eq_f32_e32 vcc_lo, v7, v8
	v_cmp_lt_i32_e64 s2, v10, v11
	s_delay_alu instid0(VALU_DEP_1) | instskip(SKIP_2) | instid1(VALU_DEP_2)
	s_and_b32 vcc_lo, vcc_lo, s2
	v_cmp_lt_f32_e64 s2, v7, v8
	v_cndmask_b32_e32 v12, v8, v7, vcc_lo
	s_or_b32 vcc_lo, s2, vcc_lo
	s_delay_alu instid0(VALU_DEP_1) | instskip(SKIP_2) | instid1(VALU_DEP_2)
	v_cndmask_b32_e64 v8, v12, v7, s2
	v_cndmask_b32_e32 v7, v11, v10, vcc_lo
	s_mov_b32 s2, exec_lo
	v_mov_b32_dpp v11, v8 row_half_mirror row_mask:0xf bank_mask:0xf
	s_delay_alu instid0(VALU_DEP_2) | instskip(NEXT) | instid1(VALU_DEP_2)
	v_mov_b32_dpp v10, v7 row_half_mirror row_mask:0xf bank_mask:0xf
	v_cmpx_nlt_f32_e32 v8, v11
; %bb.100:                              ;   in Loop: Header=BB20_82 Depth=1
	s_delay_alu instid0(VALU_DEP_2) | instskip(SKIP_1) | instid1(VALU_DEP_2)
	v_min_i32_e32 v7, v7, v10
	v_cmp_eq_f32_e32 vcc_lo, v8, v11
	v_cndmask_b32_e32 v7, v10, v7, vcc_lo
; %bb.101:                              ;   in Loop: Header=BB20_82 Depth=1
	s_or_b32 exec_lo, exec_lo, s2
.LBB20_102:                             ;   in Loop: Header=BB20_82 Depth=1
	s_cbranch_execnz .LBB20_81
.LBB20_103:                             ;   in Loop: Header=BB20_82 Depth=1
	s_cmp_lt_i32 s28, 4
	s_cbranch_scc1 .LBB20_109
; %bb.104:                              ;   in Loop: Header=BB20_82 Depth=1
	v_mov_b32_e32 v7, v2
	s_cmp_eq_u32 s28, 4
	s_cbranch_scc0 .LBB20_108
; %bb.105:                              ;   in Loop: Header=BB20_82 Depth=1
	s_delay_alu instid0(VALU_DEP_1) | instskip(SKIP_1) | instid1(VALU_DEP_2)
	v_mov_b32_dpp v7, v5 quad_perm:[1,0,3,2] row_mask:0xf bank_mask:0xf
	v_mov_b32_dpp v10, v2 quad_perm:[1,0,3,2] row_mask:0xf bank_mask:0xf
	v_cmp_eq_f32_e32 vcc_lo, v5, v7
	s_delay_alu instid0(VALU_DEP_2) | instskip(SKIP_1) | instid1(VALU_DEP_2)
	v_cmp_lt_i32_e64 s2, v2, v10
	v_cmp_lt_f32_e64 s3, v5, v7
	s_and_b32 s2, vcc_lo, s2
	s_delay_alu instid0(VALU_DEP_1) | instid1(SALU_CYCLE_1)
	s_or_b32 vcc_lo, s3, s2
	s_mov_b32 s2, exec_lo
	v_dual_cndmask_b32 v8, v7, v5 :: v_dual_cndmask_b32 v7, v10, v2
	s_delay_alu instid0(VALU_DEP_1) | instskip(NEXT) | instid1(VALU_DEP_2)
	v_mov_b32_dpp v11, v8 quad_perm:[2,3,0,1] row_mask:0xf bank_mask:0xf
	v_mov_b32_dpp v10, v7 quad_perm:[2,3,0,1] row_mask:0xf bank_mask:0xf
	s_delay_alu instid0(VALU_DEP_2)
	v_cmpx_nlt_f32_e32 v8, v11
; %bb.106:                              ;   in Loop: Header=BB20_82 Depth=1
	s_delay_alu instid0(VALU_DEP_2) | instskip(SKIP_1) | instid1(VALU_DEP_2)
	v_min_i32_e32 v7, v7, v10
	v_cmp_eq_f32_e32 vcc_lo, v8, v11
	v_cndmask_b32_e32 v7, v10, v7, vcc_lo
; %bb.107:                              ;   in Loop: Header=BB20_82 Depth=1
	s_or_b32 exec_lo, exec_lo, s2
.LBB20_108:                             ;   in Loop: Header=BB20_82 Depth=1
	s_cbranch_execnz .LBB20_81
	s_branch .LBB20_110
.LBB20_109:                             ;   in Loop: Header=BB20_82 Depth=1
                                        ; implicit-def: $vgpr7
.LBB20_110:                             ;   in Loop: Header=BB20_82 Depth=1
	v_mov_b32_e32 v7, v2
	s_cmp_lg_u32 s28, 2
	s_cbranch_scc1 .LBB20_81
; %bb.111:                              ;   in Loop: Header=BB20_82 Depth=1
	v_mov_b32_dpp v10, v5 quad_perm:[1,0,3,2] row_mask:0xf bank_mask:0xf
	v_mov_b32_dpp v8, v2 quad_perm:[1,0,3,2] row_mask:0xf bank_mask:0xf
	v_mov_b32_e32 v7, v2
	s_mov_b32 s2, exec_lo
	s_delay_alu instid0(VALU_DEP_3)
	v_cmpx_nlt_f32_e32 v5, v10
	s_cbranch_execz .LBB20_80
; %bb.112:                              ;   in Loop: Header=BB20_82 Depth=1
	v_min_i32_e32 v7, v2, v8
	v_cmp_eq_f32_e32 vcc_lo, v5, v10
	s_delay_alu instid0(VALU_DEP_2)
	v_cndmask_b32_e32 v7, v8, v7, vcc_lo
	s_branch .LBB20_80
.LBB20_113:
	s_clause 0x2
	s_load_b128 s[4:7], s[0:1], 0x40
	s_load_b64 s[10:11], s[0:1], 0x50
	s_load_b32 s15, s[0:1], 0x58
	s_cmp_lg_u32 0, -1
	s_mov_b64 s[0:1], src_shared_base
	s_cselect_b32 s0, 0, 0
	v_ashrrev_i32_e32 v7, 31, v4
	s_cselect_b32 s1, s1, 0
	s_add_u32 s0, s0, 0xff
	s_addc_u32 s1, s1, 0
	s_and_b32 s0, s0, 0xffffff00
	s_waitcnt vmcnt(0)
	scratch_store_b32 off, v3, off offset:128
	s_waitcnt lgkmcnt(0)
	v_alignbit_b32 v8, s5, s4, 30
	s_lshl_b32 s2, s4, 2
	s_sub_u32 s12, s4, s6
	v_mad_u64_u32 v[5:6], null, s2, v4, s[0:1]
	v_mul_lo_u32 v7, s2, v7
	s_subb_u32 s13, s5, s7
	v_mul_lo_u32 v4, v8, v4
	v_cmp_lt_i64_e64 s0, s[12:13], 1
	s_delay_alu instid0(VALU_DEP_1) | instskip(NEXT) | instid1(VALU_DEP_2)
	s_and_b32 vcc_lo, exec_lo, s0
	v_add3_u32 v8, v4, v6, v7
	v_cmp_eq_u32_e64 s0, 0, v9
	s_cbranch_vccnz .LBB20_188
; %bb.114:
	s_cmp_lt_i32 s8, 2
	s_mov_b32 s33, 0x76543210
	s_cselect_b32 s3, -1, 0
	s_add_i32 s2, s8, -1
	s_add_i32 s9, s8, -2
	s_ashr_i32 s1, s15, 31
	s_and_b32 s16, s2, 7
	s_cmp_gt_u32 s9, 6
	s_cselect_b32 s17, -1, 0
	s_and_b32 s18, s2, -8
	s_cmp_lg_u32 s16, 0
	s_cselect_b32 s19, -1, 0
	s_and_b32 s24, s8, 7
	s_cmp_gt_u32 s8, 7
	s_cselect_b32 s25, -1, 0
	s_and_b32 s27, s8, 0x7ffffff8
	s_cmp_lg_u32 s24, 0
	s_cselect_b32 s29, -1, 0
	s_abs_i32 s30, s8
	s_ashr_i32 s31, s8, 31
	v_cvt_f32_u32_e32 v3, s30
	s_mov_b64 s[8:9], 0
	s_delay_alu instid0(VALU_DEP_1)
	v_rcp_iflag_f32_e32 v6, v3
	v_mad_u64_u32 v[3:4], null, v0, s15, 0
	s_waitcnt_depctr 0xfff
	v_mul_f32_e32 v10, 0x4f7ffffe, v6
	v_mad_u64_u32 v[6:7], null, v0, s1, v[4:5]
	s_sub_i32 s1, 0, s30
	s_delay_alu instid0(VALU_DEP_2) | instskip(SKIP_1) | instid1(VALU_DEP_3)
	v_cvt_u32_f32_e32 v12, v10
	v_mov_b32_e32 v10, 0
	v_mov_b32_e32 v4, v6
	s_delay_alu instid0(VALU_DEP_3) | instskip(SKIP_1) | instid1(VALU_DEP_2)
	v_mul_lo_u32 v7, s1, v12
	v_add_nc_u32_e64 v6, 0x80, 32
	v_mul_hi_u32 v13, v12, v7
	s_delay_alu instid0(VALU_DEP_1) | instskip(SKIP_1) | instid1(VALU_DEP_1)
	v_dual_mov_b32 v13, 0xff7fffff :: v_dual_add_nc_u32 v12, v12, v13
	v_lshlrev_b64 v[3:4], 2, v[3:4]
	v_add_co_u32 v7, vcc_lo, s22, v3
	s_delay_alu instid0(VALU_DEP_2)
	v_add_co_ci_u32_e32 v11, vcc_lo, s23, v4, vcc_lo
	s_branch .LBB20_116
.LBB20_115:                             ;   in Loop: Header=BB20_116 Depth=1
	s_or_b32 exec_lo, exec_lo, s1
	s_add_u32 s8, s8, 1
	s_addc_u32 s9, s9, 0
	s_delay_alu instid0(SALU_CYCLE_1) | instskip(NEXT) | instid1(VALU_DEP_1)
	v_cmp_le_i64_e64 s1, s[12:13], s[8:9]
	s_and_b32 vcc_lo, exec_lo, s1
	s_cbranch_vccnz .LBB20_189
.LBB20_116:                             ; =>This Loop Header: Depth=1
                                        ;     Child Loop BB20_119 Depth 2
                                        ;     Child Loop BB20_123 Depth 2
	;; [unrolled: 1-line block ×4, first 2 shown]
	scratch_load_b32 v14, off, off offset:128
	v_mov_b32_e32 v3, v2
	s_waitcnt vmcnt(0)
	v_cmp_eq_f32_e32 vcc_lo, 0x7f7fffff, v14
	v_cndmask_b32_e64 v4, v14, 0xff7fffff, vcc_lo
	s_or_b32 s1, s3, vcc_lo
	s_delay_alu instid0(SALU_CYCLE_1) | instskip(NEXT) | instid1(SALU_CYCLE_1)
	s_xor_b32 s2, s1, -1
	s_and_saveexec_b32 s1, s2
	s_cbranch_execz .LBB20_125
; %bb.117:                              ;   in Loop: Header=BB20_116 Depth=1
	s_and_not1_b32 vcc_lo, exec_lo, s17
	s_mov_b32 s2, 1
	s_cbranch_vccnz .LBB20_121
; %bb.118:                              ;   in Loop: Header=BB20_116 Depth=1
	v_mov_b32_e32 v4, v6
	v_mov_b32_e32 v3, v2
	s_mov_b32 s34, 0
	s_set_inst_prefetch_distance 0x1
	.p2align	6
.LBB20_119:                             ;   Parent Loop BB20_116 Depth=1
                                        ; =>  This Inner Loop Header: Depth=2
	s_clause 0x1
	scratch_load_b128 v[15:18], v4, off offset:-28
	scratch_load_b128 v[19:22], v4, off offset:-12
	s_mov_b32 s2, s34
	s_add_i32 s34, s34, 8
	s_delay_alu instid0(SALU_CYCLE_1) | instskip(SKIP_3) | instid1(VALU_DEP_1)
	s_cmp_lg_u32 s18, s34
	s_waitcnt vmcnt(1)
	v_cmp_gt_f32_e32 vcc_lo, v15, v14
	v_dual_cndmask_b32 v14, v14, v15 :: v_dual_add_nc_u32 v23, s2, v2
	v_add_nc_u32_e32 v25, 2, v23
	v_add_nc_u32_e32 v24, 1, v23
	s_delay_alu instid0(VALU_DEP_1) | instskip(NEXT) | instid1(VALU_DEP_4)
	v_dual_cndmask_b32 v3, v3, v24 :: v_dual_add_nc_u32 v26, 3, v23
	v_cmp_gt_f32_e32 vcc_lo, v16, v14
	s_delay_alu instid0(VALU_DEP_2) | instskip(SKIP_1) | instid1(VALU_DEP_2)
	v_dual_cndmask_b32 v14, v14, v16 :: v_dual_cndmask_b32 v3, v3, v25
	v_add_nc_u32_e32 v16, 7, v23
	v_cmp_gt_f32_e32 vcc_lo, v17, v14
	v_add_nc_u32_e32 v27, 4, v23
	s_delay_alu instid0(VALU_DEP_4) | instskip(SKIP_1) | instid1(VALU_DEP_1)
	v_dual_cndmask_b32 v3, v3, v26 :: v_dual_add_nc_u32 v28, 5, v23
	v_cndmask_b32_e32 v14, v14, v17, vcc_lo
	v_cmp_gt_f32_e32 vcc_lo, v18, v14
	s_delay_alu instid0(VALU_DEP_3) | instskip(SKIP_1) | instid1(VALU_DEP_1)
	v_dual_cndmask_b32 v14, v14, v18 :: v_dual_cndmask_b32 v3, v3, v27
	s_waitcnt vmcnt(0)
	v_cmp_gt_f32_e32 vcc_lo, v19, v14
	s_delay_alu instid0(VALU_DEP_2) | instskip(NEXT) | instid1(VALU_DEP_1)
	v_dual_cndmask_b32 v14, v14, v19 :: v_dual_cndmask_b32 v3, v3, v28
	v_cmp_gt_f32_e32 vcc_lo, v20, v14
	v_dual_cndmask_b32 v14, v14, v20 :: v_dual_add_nc_u32 v15, 6, v23
	s_delay_alu instid0(VALU_DEP_1) | instskip(NEXT) | instid1(VALU_DEP_2)
	v_cndmask_b32_e32 v3, v3, v15, vcc_lo
	v_cmp_gt_f32_e32 vcc_lo, v21, v14
	s_delay_alu instid0(VALU_DEP_2) | instskip(NEXT) | instid1(VALU_DEP_1)
	v_dual_cndmask_b32 v14, v14, v21 :: v_dual_cndmask_b32 v3, v3, v16
	v_cmp_gt_f32_e32 vcc_lo, v22, v14
	v_dual_cndmask_b32 v14, v14, v22 :: v_dual_add_nc_u32 v15, 8, v23
	s_delay_alu instid0(VALU_DEP_1)
	v_dual_cndmask_b32 v3, v3, v15 :: v_dual_add_nc_u32 v4, 32, v4
	s_cbranch_scc1 .LBB20_119
; %bb.120:                              ;   in Loop: Header=BB20_116 Depth=1
	s_set_inst_prefetch_distance 0x2
	s_add_i32 s2, s2, 9
	s_and_not1_b32 vcc_lo, exec_lo, s19
	s_cbranch_vccz .LBB20_122
	s_branch .LBB20_124
.LBB20_121:                             ;   in Loop: Header=BB20_116 Depth=1
	v_mov_b32_e32 v3, v2
	s_and_not1_b32 vcc_lo, exec_lo, s19
	s_cbranch_vccnz .LBB20_124
.LBB20_122:                             ;   in Loop: Header=BB20_116 Depth=1
	s_lshl_b32 s34, s2, 2
	v_add_nc_u32_e32 v4, s2, v2
	v_add_nc_u32_e64 v15, 0x80, s34
	s_mov_b32 s2, s16
.LBB20_123:                             ;   Parent Loop BB20_116 Depth=1
                                        ; =>  This Inner Loop Header: Depth=2
	scratch_load_b32 v16, v15, off
	s_add_i32 s2, s2, -1
	s_delay_alu instid0(SALU_CYCLE_1)
	s_cmp_lg_u32 s2, 0
	s_waitcnt vmcnt(0)
	v_cmp_gt_f32_e32 vcc_lo, v16, v14
	v_dual_cndmask_b32 v14, v14, v16 :: v_dual_add_nc_u32 v15, 4, v15
	v_cndmask_b32_e32 v3, v3, v4, vcc_lo
	v_add_nc_u32_e32 v4, 1, v4
	s_cbranch_scc1 .LBB20_123
.LBB20_124:                             ;   in Loop: Header=BB20_116 Depth=1
	s_delay_alu instid0(VALU_DEP_3)
	v_mov_b32_e32 v4, v14
.LBB20_125:                             ;   in Loop: Header=BB20_116 Depth=1
	s_or_b32 exec_lo, exec_lo, s1
	s_cmp_lt_i32 s28, 8
	s_cbranch_scc1 .LBB20_133
; %bb.126:                              ;   in Loop: Header=BB20_116 Depth=1
	s_cmp_lt_i32 s28, 16
	s_cbranch_scc1 .LBB20_134
; %bb.127:                              ;   in Loop: Header=BB20_116 Depth=1
	;; [unrolled: 3-line block ×3, first 2 shown]
	v_mov_b32_e32 v14, v3
	s_cmp_eq_u32 s28, 32
	s_cbranch_scc0 .LBB20_132
; %bb.129:                              ;   in Loop: Header=BB20_116 Depth=1
	s_delay_alu instid0(VALU_DEP_1) | instskip(SKIP_1) | instid1(VALU_DEP_2)
	v_mov_b32_dpp v14, v4 quad_perm:[1,0,3,2] row_mask:0xf bank_mask:0xf
	v_mov_b32_dpp v15, v3 quad_perm:[1,0,3,2] row_mask:0xf bank_mask:0xf
	v_cmp_eq_f32_e32 vcc_lo, v4, v14
	s_delay_alu instid0(VALU_DEP_2) | instskip(SKIP_1) | instid1(VALU_DEP_2)
	v_cmp_lt_i32_e64 s1, v3, v15
	v_cmp_gt_f32_e64 s2, v4, v14
	s_and_b32 s1, vcc_lo, s1
	s_delay_alu instid0(VALU_DEP_1) | instid1(SALU_CYCLE_1)
	s_or_b32 vcc_lo, s2, s1
	v_dual_cndmask_b32 v14, v14, v4 :: v_dual_cndmask_b32 v15, v15, v3
	s_delay_alu instid0(VALU_DEP_1) | instskip(NEXT) | instid1(VALU_DEP_2)
	v_mov_b32_dpp v16, v14 quad_perm:[2,3,0,1] row_mask:0xf bank_mask:0xf
	v_mov_b32_dpp v17, v15 quad_perm:[2,3,0,1] row_mask:0xf bank_mask:0xf
	s_delay_alu instid0(VALU_DEP_2) | instskip(NEXT) | instid1(VALU_DEP_2)
	v_cmp_eq_f32_e32 vcc_lo, v14, v16
	v_cmp_lt_i32_e64 s1, v15, v17
	s_delay_alu instid0(VALU_DEP_1) | instskip(SKIP_2) | instid1(VALU_DEP_2)
	s_and_b32 vcc_lo, vcc_lo, s1
	v_cmp_gt_f32_e64 s1, v14, v16
	v_cndmask_b32_e32 v18, v16, v14, vcc_lo
	s_or_b32 vcc_lo, s1, vcc_lo
	v_cndmask_b32_e32 v15, v17, v15, vcc_lo
	s_delay_alu instid0(VALU_DEP_2) | instskip(NEXT) | instid1(VALU_DEP_2)
	v_cndmask_b32_e64 v14, v18, v14, s1
	v_mov_b32_dpp v17, v15 row_xmask:7 row_mask:0xf bank_mask:0xf
	s_delay_alu instid0(VALU_DEP_2) | instskip(NEXT) | instid1(VALU_DEP_2)
	v_mov_b32_dpp v16, v14 row_xmask:7 row_mask:0xf bank_mask:0xf
	v_cmp_lt_i32_e64 s1, v15, v17
	s_delay_alu instid0(VALU_DEP_2) | instskip(NEXT) | instid1(VALU_DEP_2)
	v_cmp_eq_f32_e32 vcc_lo, v14, v16
	s_and_b32 vcc_lo, vcc_lo, s1
	v_cmp_gt_f32_e64 s1, v14, v16
	v_cndmask_b32_e32 v18, v16, v14, vcc_lo
	s_delay_alu instid0(VALU_DEP_2) | instskip(SKIP_1) | instid1(VALU_DEP_2)
	s_or_b32 vcc_lo, s1, vcc_lo
	v_cndmask_b32_e32 v17, v17, v15, vcc_lo
	v_cndmask_b32_e64 v14, v18, v14, s1
	s_delay_alu instid0(VALU_DEP_2) | instskip(NEXT) | instid1(VALU_DEP_2)
	v_mov_b32_dpp v18, v17 row_xmask:15 row_mask:0xf bank_mask:0xf
	v_mov_b32_dpp v15, v14 row_xmask:15 row_mask:0xf bank_mask:0xf
	s_delay_alu instid0(VALU_DEP_2) | instskip(NEXT) | instid1(VALU_DEP_2)
	v_cmp_lt_i32_e64 s1, v17, v18
	v_cmp_eq_f32_e32 vcc_lo, v14, v15
	s_delay_alu instid0(VALU_DEP_2) | instskip(SKIP_2) | instid1(VALU_DEP_2)
	s_and_b32 vcc_lo, vcc_lo, s1
	v_cmp_gt_f32_e64 s1, v14, v15
	v_cndmask_b32_e32 v16, v15, v14, vcc_lo
	s_or_b32 vcc_lo, s1, vcc_lo
	s_delay_alu instid0(VALU_DEP_1) | instskip(SKIP_2) | instid1(VALU_DEP_2)
	v_cndmask_b32_e64 v15, v16, v14, s1
	v_cndmask_b32_e32 v14, v18, v17, vcc_lo
	s_mov_b32 s1, exec_lo
	v_permlanex16_b32 v16, v15, s33, 0xfedcba98 op_sel:[1,1]
	s_delay_alu instid0(VALU_DEP_1)
	v_cmpx_ngt_f32_e32 v15, v16
; %bb.130:                              ;   in Loop: Header=BB20_116 Depth=1
	s_delay_alu instid0(VALU_DEP_3) | instskip(NEXT) | instid1(VALU_DEP_1)
	v_mov_b32_e32 v14, v14
	v_permlanex16_b32 v17, v14, s33, 0xfedcba98 op_sel:[1,1]
	v_cmp_eq_f32_e32 vcc_lo, v15, v16
	s_delay_alu instid0(VALU_DEP_2) | instskip(NEXT) | instid1(VALU_DEP_1)
	v_min_i32_e32 v14, v14, v17
	v_cndmask_b32_e32 v14, v17, v14, vcc_lo
; %bb.131:                              ;   in Loop: Header=BB20_116 Depth=1
	s_or_b32 exec_lo, exec_lo, s1
.LBB20_132:                             ;   in Loop: Header=BB20_116 Depth=1
	s_cbranch_execz .LBB20_136
	s_branch .LBB20_140
.LBB20_133:                             ;   in Loop: Header=BB20_116 Depth=1
                                        ; implicit-def: $vgpr14
	s_branch .LBB20_146
.LBB20_134:                             ;   in Loop: Header=BB20_116 Depth=1
                                        ; implicit-def: $vgpr14
	s_branch .LBB20_141
.LBB20_135:                             ;   in Loop: Header=BB20_116 Depth=1
                                        ; implicit-def: $vgpr14
.LBB20_136:                             ;   in Loop: Header=BB20_116 Depth=1
	v_mov_b32_e32 v14, v3
	s_cmp_eq_u32 s28, 16
	s_cbranch_scc0 .LBB20_140
; %bb.137:                              ;   in Loop: Header=BB20_116 Depth=1
	s_delay_alu instid0(VALU_DEP_1) | instskip(SKIP_1) | instid1(VALU_DEP_2)
	v_mov_b32_dpp v14, v4 quad_perm:[1,0,3,2] row_mask:0xf bank_mask:0xf
	v_mov_b32_dpp v15, v3 quad_perm:[1,0,3,2] row_mask:0xf bank_mask:0xf
	v_cmp_eq_f32_e32 vcc_lo, v4, v14
	s_delay_alu instid0(VALU_DEP_2) | instskip(SKIP_1) | instid1(VALU_DEP_2)
	v_cmp_lt_i32_e64 s1, v3, v15
	v_cmp_gt_f32_e64 s2, v4, v14
	s_and_b32 s1, vcc_lo, s1
	s_delay_alu instid0(VALU_DEP_1) | instid1(SALU_CYCLE_1)
	s_or_b32 vcc_lo, s2, s1
	v_dual_cndmask_b32 v14, v14, v4 :: v_dual_cndmask_b32 v15, v15, v3
	s_delay_alu instid0(VALU_DEP_1) | instskip(NEXT) | instid1(VALU_DEP_2)
	v_mov_b32_dpp v16, v14 quad_perm:[2,3,0,1] row_mask:0xf bank_mask:0xf
	v_mov_b32_dpp v17, v15 quad_perm:[2,3,0,1] row_mask:0xf bank_mask:0xf
	s_delay_alu instid0(VALU_DEP_2) | instskip(NEXT) | instid1(VALU_DEP_2)
	v_cmp_eq_f32_e32 vcc_lo, v14, v16
	v_cmp_lt_i32_e64 s1, v15, v17
	s_delay_alu instid0(VALU_DEP_1) | instskip(SKIP_2) | instid1(VALU_DEP_2)
	s_and_b32 vcc_lo, vcc_lo, s1
	v_cmp_gt_f32_e64 s1, v14, v16
	v_cndmask_b32_e32 v18, v16, v14, vcc_lo
	s_or_b32 vcc_lo, s1, vcc_lo
	s_delay_alu instid0(VALU_DEP_1) | instskip(SKIP_1) | instid1(VALU_DEP_2)
	v_cndmask_b32_e64 v14, v18, v14, s1
	v_cndmask_b32_e32 v16, v17, v15, vcc_lo
	v_mov_b32_dpp v15, v14 row_half_mirror row_mask:0xf bank_mask:0xf
	s_delay_alu instid0(VALU_DEP_2) | instskip(NEXT) | instid1(VALU_DEP_2)
	v_mov_b32_dpp v17, v16 row_half_mirror row_mask:0xf bank_mask:0xf
	v_cmp_eq_f32_e32 vcc_lo, v14, v15
	s_delay_alu instid0(VALU_DEP_2) | instskip(NEXT) | instid1(VALU_DEP_1)
	v_cmp_lt_i32_e64 s1, v16, v17
	s_and_b32 vcc_lo, vcc_lo, s1
	v_cmp_gt_f32_e64 s1, v14, v15
	v_cndmask_b32_e32 v18, v15, v14, vcc_lo
	s_delay_alu instid0(VALU_DEP_2) | instskip(NEXT) | instid1(VALU_DEP_1)
	s_or_b32 vcc_lo, s1, vcc_lo
	v_cndmask_b32_e64 v15, v18, v14, s1
	v_cndmask_b32_e32 v14, v17, v16, vcc_lo
	s_mov_b32 s1, exec_lo
	s_delay_alu instid0(VALU_DEP_2) | instskip(NEXT) | instid1(VALU_DEP_2)
	v_mov_b32_dpp v17, v15 row_mirror row_mask:0xf bank_mask:0xf
	v_mov_b32_dpp v16, v14 row_mirror row_mask:0xf bank_mask:0xf
	s_delay_alu instid0(VALU_DEP_2)
	v_cmpx_ngt_f32_e32 v15, v17
; %bb.138:                              ;   in Loop: Header=BB20_116 Depth=1
	s_delay_alu instid0(VALU_DEP_2) | instskip(SKIP_1) | instid1(VALU_DEP_2)
	v_min_i32_e32 v14, v14, v16
	v_cmp_eq_f32_e32 vcc_lo, v15, v17
	v_cndmask_b32_e32 v14, v16, v14, vcc_lo
; %bb.139:                              ;   in Loop: Header=BB20_116 Depth=1
	s_or_b32 exec_lo, exec_lo, s1
.LBB20_140:                             ;   in Loop: Header=BB20_116 Depth=1
	s_cbranch_execnz .LBB20_145
.LBB20_141:                             ;   in Loop: Header=BB20_116 Depth=1
	v_mov_b32_e32 v14, v3
	s_cmp_eq_u32 s28, 8
	s_cbranch_scc0 .LBB20_145
; %bb.142:                              ;   in Loop: Header=BB20_116 Depth=1
	s_delay_alu instid0(VALU_DEP_1) | instskip(SKIP_1) | instid1(VALU_DEP_2)
	v_mov_b32_dpp v14, v4 quad_perm:[1,0,3,2] row_mask:0xf bank_mask:0xf
	v_mov_b32_dpp v15, v3 quad_perm:[1,0,3,2] row_mask:0xf bank_mask:0xf
	v_cmp_eq_f32_e32 vcc_lo, v4, v14
	s_delay_alu instid0(VALU_DEP_2) | instskip(SKIP_1) | instid1(VALU_DEP_2)
	v_cmp_lt_i32_e64 s1, v3, v15
	v_cmp_gt_f32_e64 s2, v4, v14
	s_and_b32 s1, vcc_lo, s1
	s_delay_alu instid0(VALU_DEP_1) | instid1(SALU_CYCLE_1)
	s_or_b32 vcc_lo, s2, s1
	v_cndmask_b32_e32 v14, v14, v4, vcc_lo
	v_cndmask_b32_e32 v16, v15, v3, vcc_lo
	s_delay_alu instid0(VALU_DEP_2) | instskip(NEXT) | instid1(VALU_DEP_2)
	v_mov_b32_dpp v15, v14 quad_perm:[2,3,0,1] row_mask:0xf bank_mask:0xf
	v_mov_b32_dpp v17, v16 quad_perm:[2,3,0,1] row_mask:0xf bank_mask:0xf
	s_delay_alu instid0(VALU_DEP_2) | instskip(NEXT) | instid1(VALU_DEP_2)
	v_cmp_eq_f32_e32 vcc_lo, v14, v15
	v_cmp_lt_i32_e64 s1, v16, v17
	s_delay_alu instid0(VALU_DEP_1) | instskip(SKIP_2) | instid1(VALU_DEP_2)
	s_and_b32 vcc_lo, vcc_lo, s1
	v_cmp_gt_f32_e64 s1, v14, v15
	v_cndmask_b32_e32 v18, v15, v14, vcc_lo
	s_or_b32 vcc_lo, s1, vcc_lo
	s_delay_alu instid0(VALU_DEP_1) | instskip(SKIP_2) | instid1(VALU_DEP_2)
	v_cndmask_b32_e64 v15, v18, v14, s1
	v_cndmask_b32_e32 v14, v17, v16, vcc_lo
	s_mov_b32 s1, exec_lo
	v_mov_b32_dpp v17, v15 row_half_mirror row_mask:0xf bank_mask:0xf
	s_delay_alu instid0(VALU_DEP_2) | instskip(NEXT) | instid1(VALU_DEP_2)
	v_mov_b32_dpp v16, v14 row_half_mirror row_mask:0xf bank_mask:0xf
	v_cmpx_ngt_f32_e32 v15, v17
; %bb.143:                              ;   in Loop: Header=BB20_116 Depth=1
	s_delay_alu instid0(VALU_DEP_2) | instskip(SKIP_1) | instid1(VALU_DEP_2)
	v_min_i32_e32 v14, v14, v16
	v_cmp_eq_f32_e32 vcc_lo, v15, v17
	v_cndmask_b32_e32 v14, v16, v14, vcc_lo
; %bb.144:                              ;   in Loop: Header=BB20_116 Depth=1
	s_or_b32 exec_lo, exec_lo, s1
.LBB20_145:                             ;   in Loop: Header=BB20_116 Depth=1
	s_cbranch_execnz .LBB20_158
.LBB20_146:                             ;   in Loop: Header=BB20_116 Depth=1
	s_cmp_lt_i32 s28, 4
	s_cbranch_scc1 .LBB20_152
; %bb.147:                              ;   in Loop: Header=BB20_116 Depth=1
	v_mov_b32_e32 v14, v3
	s_cmp_eq_u32 s28, 4
	s_cbranch_scc0 .LBB20_151
; %bb.148:                              ;   in Loop: Header=BB20_116 Depth=1
	s_delay_alu instid0(VALU_DEP_1) | instskip(SKIP_1) | instid1(VALU_DEP_2)
	v_mov_b32_dpp v14, v4 quad_perm:[1,0,3,2] row_mask:0xf bank_mask:0xf
	v_mov_b32_dpp v16, v3 quad_perm:[1,0,3,2] row_mask:0xf bank_mask:0xf
	v_cmp_eq_f32_e32 vcc_lo, v4, v14
	s_delay_alu instid0(VALU_DEP_2) | instskip(SKIP_1) | instid1(VALU_DEP_2)
	v_cmp_lt_i32_e64 s1, v3, v16
	v_cmp_gt_f32_e64 s2, v4, v14
	s_and_b32 s1, vcc_lo, s1
	s_delay_alu instid0(VALU_DEP_1) | instid1(SALU_CYCLE_1)
	s_or_b32 vcc_lo, s2, s1
	s_mov_b32 s1, exec_lo
	v_dual_cndmask_b32 v15, v14, v4 :: v_dual_cndmask_b32 v14, v16, v3
	s_delay_alu instid0(VALU_DEP_1) | instskip(NEXT) | instid1(VALU_DEP_2)
	v_mov_b32_dpp v17, v15 quad_perm:[2,3,0,1] row_mask:0xf bank_mask:0xf
	v_mov_b32_dpp v16, v14 quad_perm:[2,3,0,1] row_mask:0xf bank_mask:0xf
	s_delay_alu instid0(VALU_DEP_2)
	v_cmpx_ngt_f32_e32 v15, v17
; %bb.149:                              ;   in Loop: Header=BB20_116 Depth=1
	s_delay_alu instid0(VALU_DEP_2) | instskip(SKIP_1) | instid1(VALU_DEP_2)
	v_min_i32_e32 v14, v14, v16
	v_cmp_eq_f32_e32 vcc_lo, v15, v17
	v_cndmask_b32_e32 v14, v16, v14, vcc_lo
; %bb.150:                              ;   in Loop: Header=BB20_116 Depth=1
	s_or_b32 exec_lo, exec_lo, s1
.LBB20_151:                             ;   in Loop: Header=BB20_116 Depth=1
	s_cbranch_execz .LBB20_153
	s_branch .LBB20_158
.LBB20_152:                             ;   in Loop: Header=BB20_116 Depth=1
                                        ; implicit-def: $vgpr14
.LBB20_153:                             ;   in Loop: Header=BB20_116 Depth=1
	s_cmp_lg_u32 s28, 2
	s_cbranch_scc1 .LBB20_157
; %bb.154:                              ;   in Loop: Header=BB20_116 Depth=1
	v_mov_b32_dpp v15, v4 quad_perm:[1,0,3,2] row_mask:0xf bank_mask:0xf
	v_mov_b32_dpp v14, v3 quad_perm:[1,0,3,2] row_mask:0xf bank_mask:0xf
	s_mov_b32 s1, exec_lo
	s_delay_alu instid0(VALU_DEP_2)
	v_cmpx_ngt_f32_e32 v4, v15
; %bb.155:                              ;   in Loop: Header=BB20_116 Depth=1
	s_delay_alu instid0(VALU_DEP_2) | instskip(SKIP_1) | instid1(VALU_DEP_2)
	v_min_i32_e32 v3, v3, v14
	v_cmp_eq_f32_e32 vcc_lo, v4, v15
	v_cndmask_b32_e32 v3, v14, v3, vcc_lo
; %bb.156:                              ;   in Loop: Header=BB20_116 Depth=1
	s_or_b32 exec_lo, exec_lo, s1
.LBB20_157:                             ;   in Loop: Header=BB20_116 Depth=1
	s_delay_alu instid0(VALU_DEP_1)
	v_mov_b32_e32 v14, v3
.LBB20_158:                             ;   in Loop: Header=BB20_116 Depth=1
	s_delay_alu instid0(VALU_DEP_1) | instskip(SKIP_1) | instid1(VALU_DEP_1)
	v_sub_nc_u32_e32 v3, 0, v14
	s_mov_b32 s1, exec_lo
	v_max_i32_e32 v3, v14, v3
	s_delay_alu instid0(VALU_DEP_1) | instskip(NEXT) | instid1(VALU_DEP_1)
	v_mul_hi_u32 v4, v3, v12
	v_mul_lo_u32 v15, v4, s30
	s_delay_alu instid0(VALU_DEP_1) | instskip(SKIP_1) | instid1(VALU_DEP_2)
	v_sub_nc_u32_e32 v3, v3, v15
	v_add_nc_u32_e32 v15, 1, v4
	v_subrev_nc_u32_e32 v16, s30, v3
	v_cmp_le_u32_e32 vcc_lo, s30, v3
	s_delay_alu instid0(VALU_DEP_2) | instskip(SKIP_1) | instid1(VALU_DEP_2)
	v_dual_cndmask_b32 v4, v4, v15 :: v_dual_cndmask_b32 v3, v3, v16
	v_ashrrev_i32_e32 v15, 31, v14
	v_add_nc_u32_e32 v16, 1, v4
	s_delay_alu instid0(VALU_DEP_3) | instskip(NEXT) | instid1(VALU_DEP_3)
	v_cmp_le_u32_e32 vcc_lo, s30, v3
	v_xor_b32_e32 v15, s31, v15
	s_delay_alu instid0(VALU_DEP_3) | instskip(NEXT) | instid1(VALU_DEP_1)
	v_cndmask_b32_e32 v3, v4, v16, vcc_lo
	v_xor_b32_e32 v3, v3, v15
	s_delay_alu instid0(VALU_DEP_1) | instskip(NEXT) | instid1(VALU_DEP_1)
	v_sub_nc_u32_e32 v3, v3, v15
	v_cmpx_eq_u32_e64 v9, v3
	s_cbranch_execz .LBB20_186
; %bb.159:                              ;   in Loop: Header=BB20_116 Depth=1
	s_and_not1_b32 vcc_lo, exec_lo, s14
	s_cbranch_vccnz .LBB20_185
; %bb.160:                              ;   in Loop: Header=BB20_116 Depth=1
	v_sub_nc_u32_e32 v17, v14, v2
	s_lshl_b64 s[34:35], s[8:9], 2
	s_mov_b32 s2, 0
	v_add_co_u32 v3, vcc_lo, v5, s34
	s_delay_alu instid0(VALU_DEP_2) | instskip(SKIP_2) | instid1(VALU_DEP_2)
	v_lshlrev_b32_e32 v16, 2, v17
	v_add_co_ci_u32_e32 v4, vcc_lo, s35, v8, vcc_lo
	s_and_not1_b32 vcc_lo, exec_lo, s25
	v_add_nc_u32_e32 v15, 0, v16
	v_add_nc_u32_e32 v16, 0x80, v16
	s_cbranch_vccnz .LBB20_180
; %bb.161:                              ;   in Loop: Header=BB20_116 Depth=1
	s_mov_b32 s34, 0
	s_branch .LBB20_163
.LBB20_162:                             ;   in Loop: Header=BB20_163 Depth=2
	s_or_b32 exec_lo, exec_lo, s35
	s_add_i32 s34, s34, 1
	s_delay_alu instid0(SALU_CYCLE_1)
	s_cmp_eq_u32 s34, s27
	s_cbranch_scc1 .LBB20_179
.LBB20_163:                             ;   Parent Loop BB20_116 Depth=1
                                        ; =>  This Inner Loop Header: Depth=2
	s_mov_b32 s2, s34
	s_mov_b32 s34, exec_lo
	v_cmpx_eq_u32_e64 s2, v17
	s_cbranch_execz .LBB20_165
; %bb.164:                              ;   in Loop: Header=BB20_163 Depth=2
	scratch_load_b32 v18, v15, off
	scratch_store_b32 v16, v13, off
	s_waitcnt vmcnt(0)
	flat_store_b32 v[3:4], v18
.LBB20_165:                             ;   in Loop: Header=BB20_163 Depth=2
	s_or_b32 exec_lo, exec_lo, s34
	s_add_i32 s34, s2, 1
	s_mov_b32 s35, exec_lo
	v_cmpx_eq_u32_e64 s34, v17
	s_cbranch_execz .LBB20_167
; %bb.166:                              ;   in Loop: Header=BB20_163 Depth=2
	scratch_load_b32 v18, v15, off
	scratch_store_b32 v16, v13, off
	s_waitcnt vmcnt(0)
	flat_store_b32 v[3:4], v18
.LBB20_167:                             ;   in Loop: Header=BB20_163 Depth=2
	s_or_b32 exec_lo, exec_lo, s35
	s_add_i32 s34, s34, 1
	;; [unrolled: 11-line block ×7, first 2 shown]
	s_mov_b32 s35, exec_lo
	v_cmpx_eq_u32_e64 s34, v17
	s_cbranch_execz .LBB20_162
; %bb.178:                              ;   in Loop: Header=BB20_163 Depth=2
	scratch_load_b32 v18, v15, off
	scratch_store_b32 v16, v13, off
	s_waitcnt vmcnt(0)
	flat_store_b32 v[3:4], v18
	s_branch .LBB20_162
.LBB20_179:                             ;   in Loop: Header=BB20_116 Depth=1
	s_add_i32 s2, s2, 8
.LBB20_180:                             ;   in Loop: Header=BB20_116 Depth=1
	s_and_not1_b32 vcc_lo, exec_lo, s29
	s_cbranch_vccnz .LBB20_185
; %bb.181:                              ;   in Loop: Header=BB20_116 Depth=1
	v_add_nc_u32_e32 v17, s2, v2
	s_mov_b32 s2, s24
	s_delay_alu instid0(VALU_DEP_1)
	v_sub_nc_u32_e32 v17, v17, v14
	s_branch .LBB20_183
.LBB20_182:                             ;   in Loop: Header=BB20_183 Depth=2
	s_or_b32 exec_lo, exec_lo, s34
	v_add_nc_u32_e32 v17, 1, v17
	s_add_i32 s2, s2, -1
	s_delay_alu instid0(SALU_CYCLE_1)
	s_cmp_lg_u32 s2, 0
	s_cbranch_scc0 .LBB20_185
.LBB20_183:                             ;   Parent Loop BB20_116 Depth=1
                                        ; =>  This Inner Loop Header: Depth=2
	s_mov_b32 s34, exec_lo
	s_delay_alu instid0(VALU_DEP_1)
	v_cmpx_eq_u32_e32 0, v17
	s_cbranch_execz .LBB20_182
; %bb.184:                              ;   in Loop: Header=BB20_183 Depth=2
	scratch_load_b32 v18, v15, off
	scratch_store_b32 v16, v13, off
	s_waitcnt vmcnt(0)
	flat_store_b32 v[3:4], v18
	s_branch .LBB20_182
.LBB20_185:                             ;   in Loop: Header=BB20_116 Depth=1
	s_lshl_b64 s[34:35], s[8:9], 2
	s_delay_alu instid0(SALU_CYCLE_1)
	v_add_co_u32 v3, vcc_lo, v7, s34
	v_add_co_ci_u32_e32 v4, vcc_lo, s35, v11, vcc_lo
	global_store_b32 v[3:4], v14, off
.LBB20_186:                             ;   in Loop: Header=BB20_116 Depth=1
	s_or_b32 exec_lo, exec_lo, s1
	s_waitcnt lgkmcnt(0)
	s_waitcnt_vscnt null, 0x0
	s_barrier
	buffer_gl0_inv
	s_and_saveexec_b32 s1, s0
	s_cbranch_execz .LBB20_115
; %bb.187:                              ;   in Loop: Header=BB20_116 Depth=1
	s_lshl_b64 s[34:35], s[8:9], 2
	s_delay_alu instid0(SALU_CYCLE_1)
	v_add_co_u32 v3, vcc_lo, v5, s34
	v_add_co_ci_u32_e32 v4, vcc_lo, s35, v8, vcc_lo
	flat_load_b32 v3, v[3:4]
	s_waitcnt vmcnt(0) lgkmcnt(0)
	v_add_f32_e32 v10, v10, v3
	s_branch .LBB20_115
.LBB20_188:
	v_mov_b32_e32 v10, 0
.LBB20_189:
	v_cmp_gt_i64_e64 s1, s[6:7], 0
	v_cmp_eq_u32_e64 s0, 0, v9
	s_delay_alu instid0(VALU_DEP_1) | instskip(NEXT) | instid1(SALU_CYCLE_1)
	s_and_b32 s1, s1, s0
	s_and_saveexec_b32 s8, s1
	s_cbranch_execz .LBB20_195
; %bb.190:
	v_cmp_le_u64_e32 vcc_lo, s[6:7], v[0:1]
	v_mov_b32_e32 v2, v1
	v_mov_b32_e32 v1, v0
	s_and_saveexec_b32 s1, vcc_lo
	s_cbranch_execz .LBB20_192
; %bb.191:
	v_cvt_f32_u32_e32 v1, s6
	s_sub_i32 s2, 0, s6
	s_delay_alu instid0(VALU_DEP_1) | instskip(SKIP_2) | instid1(VALU_DEP_1)
	v_rcp_iflag_f32_e32 v1, v1
	s_waitcnt_depctr 0xfff
	v_mul_f32_e32 v1, 0x4f7ffffe, v1
	v_cvt_u32_f32_e32 v1, v1
	s_delay_alu instid0(VALU_DEP_1) | instskip(NEXT) | instid1(VALU_DEP_1)
	v_mul_lo_u32 v2, s2, v1
	v_mul_hi_u32 v2, v1, v2
	s_delay_alu instid0(VALU_DEP_1) | instskip(NEXT) | instid1(VALU_DEP_1)
	v_add_nc_u32_e32 v1, v1, v2
	v_mul_hi_u32 v1, v0, v1
	s_delay_alu instid0(VALU_DEP_1) | instskip(NEXT) | instid1(VALU_DEP_1)
	v_mul_lo_u32 v1, v1, s6
	v_sub_nc_u32_e32 v1, v0, v1
	s_delay_alu instid0(VALU_DEP_1) | instskip(SKIP_1) | instid1(VALU_DEP_2)
	v_subrev_nc_u32_e32 v2, s6, v1
	v_cmp_le_u32_e32 vcc_lo, s6, v1
	v_cndmask_b32_e32 v1, v1, v2, vcc_lo
	s_delay_alu instid0(VALU_DEP_1) | instskip(SKIP_1) | instid1(VALU_DEP_2)
	v_subrev_nc_u32_e32 v2, s6, v1
	v_cmp_le_u32_e32 vcc_lo, s6, v1
	v_dual_cndmask_b32 v1, v1, v2 :: v_dual_mov_b32 v2, 0
.LBB20_192:
	s_or_b32 exec_lo, exec_lo, s1
	v_cvt_f64_f32_e32 v[3:4], v10
	s_ashr_i32 s1, s15, 31
	s_delay_alu instid0(VALU_DEP_1) | instskip(SKIP_1) | instid1(VALU_DEP_2)
	v_div_scale_f64 v[6:7], null, s[10:11], s[10:11], v[3:4]
	v_div_scale_f64 v[15:16], vcc_lo, v[3:4], s[10:11], v[3:4]
	v_rcp_f64_e32 v[11:12], v[6:7]
	s_waitcnt_depctr 0xfff
	v_fma_f64 v[13:14], -v[6:7], v[11:12], 1.0
	s_delay_alu instid0(VALU_DEP_1) | instskip(NEXT) | instid1(VALU_DEP_1)
	v_fma_f64 v[11:12], v[11:12], v[13:14], v[11:12]
	v_fma_f64 v[13:14], -v[6:7], v[11:12], 1.0
	s_delay_alu instid0(VALU_DEP_1) | instskip(NEXT) | instid1(VALU_DEP_1)
	v_fma_f64 v[11:12], v[11:12], v[13:14], v[11:12]
	v_mul_f64 v[13:14], v[15:16], v[11:12]
	s_delay_alu instid0(VALU_DEP_1) | instskip(NEXT) | instid1(VALU_DEP_1)
	v_fma_f64 v[6:7], -v[6:7], v[13:14], v[15:16]
	v_div_fmas_f64 v[6:7], v[6:7], v[11:12], v[13:14]
	v_add_nc_u32_e32 v13, s26, v1
	s_delay_alu instid0(VALU_DEP_2) | instskip(SKIP_1) | instid1(VALU_DEP_2)
	v_div_fixup_f64 v[3:4], v[6:7], s[10:11], v[3:4]
	v_mad_u64_u32 v[6:7], null, v0, s15, s[12:13]
	v_cvt_f32_f64_e32 v9, v[3:4]
	s_delay_alu instid0(VALU_DEP_2) | instskip(NEXT) | instid1(VALU_DEP_1)
	v_mov_b32_e32 v3, v7
	v_mad_u64_u32 v[11:12], null, v0, s1, v[3:4]
	v_cmp_lt_u64_e64 s1, s[6:7], 2
	s_delay_alu instid0(VALU_DEP_2) | instskip(NEXT) | instid1(VALU_DEP_1)
	v_mov_b32_e32 v7, v11
	v_lshlrev_b64 v[3:4], 2, v[6:7]
	s_delay_alu instid0(VALU_DEP_1) | instskip(NEXT) | instid1(VALU_DEP_2)
	v_add_co_u32 v6, vcc_lo, s22, v3
	v_add_co_ci_u32_e32 v7, vcc_lo, s23, v4, vcc_lo
	v_add_co_u32 v11, vcc_lo, s20, v3
	v_add_co_ci_u32_e32 v12, vcc_lo, s21, v4, vcc_lo
	s_and_b32 vcc_lo, exec_lo, s1
	global_store_b32 v[6:7], v13, off
	global_store_b32 v[11:12], v9, off
	s_cbranch_vccnz .LBB20_195
; %bb.193:
	v_add_co_u32 v6, vcc_lo, v3, 4
	v_add_co_ci_u32_e32 v7, vcc_lo, 0, v4, vcc_lo
	s_mov_b64 s[2:3], 1
	s_delay_alu instid0(VALU_DEP_2) | instskip(NEXT) | instid1(VALU_DEP_2)
	v_add_co_u32 v3, vcc_lo, s20, v6
	v_add_co_ci_u32_e32 v4, vcc_lo, s21, v7, vcc_lo
	v_add_co_u32 v6, vcc_lo, s22, v6
	v_add_co_ci_u32_e32 v7, vcc_lo, s23, v7, vcc_lo
	.p2align	6
.LBB20_194:                             ; =>This Inner Loop Header: Depth=1
	v_add_co_u32 v1, vcc_lo, v1, 1
	s_add_u32 s2, s2, 1
	s_addc_u32 s3, s3, 0
	v_add_co_ci_u32_e32 v2, vcc_lo, 0, v2, vcc_lo
	v_cmp_lt_u64_e64 s1, s[2:3], s[6:7]
	v_add_nc_u32_e32 v11, s26, v1
	global_store_b32 v[3:4], v9, off
	v_add_co_u32 v3, vcc_lo, v3, 4
	v_add_co_ci_u32_e32 v4, vcc_lo, 0, v4, vcc_lo
	s_and_b32 vcc_lo, exec_lo, s1
	global_store_b32 v[6:7], v11, off
	v_add_co_u32 v6, s1, v6, 4
	s_delay_alu instid0(VALU_DEP_1)
	v_add_co_ci_u32_e64 v7, s1, 0, v7, s1
	s_cbranch_vccnz .LBB20_194
.LBB20_195:
	s_or_b32 exec_lo, exec_lo, s8
	v_cmp_gt_i64_e64 s1, s[4:5], 0
	s_mov_b64 s[2:3], 0
	s_waitcnt_vscnt null, 0x0
	s_barrier
	buffer_gl0_inv
	s_and_b32 s0, s1, s0
	s_delay_alu instid0(SALU_CYCLE_1)
	s_and_b32 exec_lo, exec_lo, s0
	s_cbranch_execz .LBB20_202
; %bb.196:
	v_mad_u64_u32 v[1:2], null, v0, s15, 0
	s_ashr_i32 s0, s15, 31
	s_delay_alu instid0(VALU_DEP_1) | instid1(SALU_CYCLE_1)
	v_mad_u64_u32 v[3:4], null, v0, s0, v[2:3]
	v_cmp_lt_u64_e64 s0, s[4:5], 8
	s_delay_alu instid0(VALU_DEP_2) | instskip(NEXT) | instid1(VALU_DEP_1)
	v_mov_b32_e32 v2, v3
	v_lshlrev_b64 v[0:1], 2, v[1:2]
	s_delay_alu instid0(VALU_DEP_1) | instskip(NEXT) | instid1(VALU_DEP_2)
	v_add_co_u32 v0, vcc_lo, s20, v0
	v_add_co_ci_u32_e32 v1, vcc_lo, s21, v1, vcc_lo
	s_and_b32 vcc_lo, exec_lo, s0
	s_cbranch_vccnz .LBB20_199
; %bb.197:
	s_and_b32 s3, s5, 0x7fffffff
	s_and_b32 s2, s4, -8
	s_mov_b64 s[0:1], 0
	s_mov_b64 s[6:7], s[2:3]
.LBB20_198:                             ; =>This Inner Loop Header: Depth=1
	v_add_co_u32 v2, vcc_lo, v5, s0
	v_add_co_ci_u32_e32 v3, vcc_lo, s1, v8, vcc_lo
	flat_load_b32 v4, v[2:3]
	s_waitcnt vmcnt(0) lgkmcnt(0)
	v_div_scale_f32 v6, null, v10, v10, v4
	v_div_scale_f32 v11, vcc_lo, v4, v10, v4
	s_delay_alu instid0(VALU_DEP_2) | instskip(SKIP_2) | instid1(VALU_DEP_1)
	v_rcp_f32_e32 v7, v6
	s_waitcnt_depctr 0xfff
	v_fma_f32 v9, -v6, v7, 1.0
	v_fmac_f32_e32 v7, v9, v7
	s_delay_alu instid0(VALU_DEP_1) | instskip(NEXT) | instid1(VALU_DEP_1)
	v_mul_f32_e32 v9, v11, v7
	v_fma_f32 v12, -v6, v9, v11
	s_delay_alu instid0(VALU_DEP_1) | instskip(NEXT) | instid1(VALU_DEP_1)
	v_fmac_f32_e32 v9, v12, v7
	v_fma_f32 v6, -v6, v9, v11
	s_delay_alu instid0(VALU_DEP_1) | instskip(SKIP_2) | instid1(VALU_DEP_3)
	v_div_fmas_f32 v9, v6, v7, v9
	v_add_co_u32 v6, vcc_lo, v0, s0
	v_add_co_ci_u32_e32 v7, vcc_lo, s1, v1, vcc_lo
	v_div_fixup_f32 v4, v9, v10, v4
	s_add_u32 s0, s0, 32
	s_addc_u32 s1, s1, 0
	s_add_u32 s6, s6, -8
	s_addc_u32 s7, s7, -1
	global_store_b32 v[6:7], v4, off
	flat_load_b32 v4, v[2:3] offset:4
	s_cmp_lg_u64 s[6:7], 0
	s_waitcnt vmcnt(0) lgkmcnt(0)
	v_div_scale_f32 v9, null, v10, v10, v4
	v_div_scale_f32 v13, vcc_lo, v4, v10, v4
	s_delay_alu instid0(VALU_DEP_2) | instskip(SKIP_2) | instid1(VALU_DEP_1)
	v_rcp_f32_e32 v11, v9
	s_waitcnt_depctr 0xfff
	v_fma_f32 v12, -v9, v11, 1.0
	v_fmac_f32_e32 v11, v12, v11
	s_delay_alu instid0(VALU_DEP_1) | instskip(NEXT) | instid1(VALU_DEP_1)
	v_mul_f32_e32 v12, v13, v11
	v_fma_f32 v14, -v9, v12, v13
	s_delay_alu instid0(VALU_DEP_1) | instskip(NEXT) | instid1(VALU_DEP_1)
	v_fmac_f32_e32 v12, v14, v11
	v_fma_f32 v9, -v9, v12, v13
	s_delay_alu instid0(VALU_DEP_1) | instskip(NEXT) | instid1(VALU_DEP_1)
	v_div_fmas_f32 v9, v9, v11, v12
	v_div_fixup_f32 v4, v9, v10, v4
	global_store_b32 v[6:7], v4, off offset:4
	flat_load_b32 v4, v[2:3] offset:8
	s_waitcnt vmcnt(0) lgkmcnt(0)
	v_div_scale_f32 v9, null, v10, v10, v4
	v_div_scale_f32 v13, vcc_lo, v4, v10, v4
	s_delay_alu instid0(VALU_DEP_2) | instskip(SKIP_2) | instid1(VALU_DEP_1)
	v_rcp_f32_e32 v11, v9
	s_waitcnt_depctr 0xfff
	v_fma_f32 v12, -v9, v11, 1.0
	v_fmac_f32_e32 v11, v12, v11
	s_delay_alu instid0(VALU_DEP_1) | instskip(NEXT) | instid1(VALU_DEP_1)
	v_mul_f32_e32 v12, v13, v11
	v_fma_f32 v14, -v9, v12, v13
	s_delay_alu instid0(VALU_DEP_1) | instskip(NEXT) | instid1(VALU_DEP_1)
	v_fmac_f32_e32 v12, v14, v11
	v_fma_f32 v9, -v9, v12, v13
	s_delay_alu instid0(VALU_DEP_1) | instskip(NEXT) | instid1(VALU_DEP_1)
	v_div_fmas_f32 v9, v9, v11, v12
	v_div_fixup_f32 v4, v9, v10, v4
	global_store_b32 v[6:7], v4, off offset:8
	flat_load_b32 v4, v[2:3] offset:12
	;; [unrolled: 19-line block ×6, first 2 shown]
	s_waitcnt vmcnt(0) lgkmcnt(0)
	v_div_scale_f32 v3, null, v10, v10, v2
	v_div_scale_f32 v11, vcc_lo, v2, v10, v2
	s_delay_alu instid0(VALU_DEP_2) | instskip(SKIP_2) | instid1(VALU_DEP_1)
	v_rcp_f32_e32 v4, v3
	s_waitcnt_depctr 0xfff
	v_fma_f32 v9, -v3, v4, 1.0
	v_fmac_f32_e32 v4, v9, v4
	s_delay_alu instid0(VALU_DEP_1) | instskip(NEXT) | instid1(VALU_DEP_1)
	v_mul_f32_e32 v9, v11, v4
	v_fma_f32 v12, -v3, v9, v11
	s_delay_alu instid0(VALU_DEP_1) | instskip(NEXT) | instid1(VALU_DEP_1)
	v_fmac_f32_e32 v9, v12, v4
	v_fma_f32 v3, -v3, v9, v11
	s_delay_alu instid0(VALU_DEP_1) | instskip(NEXT) | instid1(VALU_DEP_1)
	v_div_fmas_f32 v3, v3, v4, v9
	v_div_fixup_f32 v2, v3, v10, v2
	global_store_b32 v[6:7], v2, off offset:28
	s_cbranch_scc1 .LBB20_198
.LBB20_199:
	s_and_b32 s0, s4, 7
	s_mov_b32 s1, 0
	s_delay_alu instid0(SALU_CYCLE_1)
	s_cmp_eq_u64 s[0:1], 0
	s_cbranch_scc1 .LBB20_202
; %bb.200:
	s_mov_b64 s[4:5], s[0:1]
	s_set_inst_prefetch_distance 0x1
	.p2align	6
.LBB20_201:                             ; =>This Inner Loop Header: Depth=1
	s_lshl_b64 s[6:7], s[2:3], 2
	s_add_i32 s0, s2, 1
	v_add_co_u32 v2, vcc_lo, v5, s6
	v_add_co_ci_u32_e32 v3, vcc_lo, s7, v8, vcc_lo
	s_add_u32 s4, s4, -1
	s_addc_u32 s5, s5, -1
	s_mov_b64 s[2:3], s[0:1]
	flat_load_b32 v4, v[2:3]
	s_cmp_lg_u64 s[4:5], 0
	s_waitcnt vmcnt(0) lgkmcnt(0)
	v_div_scale_f32 v2, null, v10, v10, v4
	v_div_scale_f32 v7, vcc_lo, v4, v10, v4
	s_delay_alu instid0(VALU_DEP_2) | instskip(SKIP_2) | instid1(VALU_DEP_1)
	v_rcp_f32_e32 v3, v2
	s_waitcnt_depctr 0xfff
	v_fma_f32 v6, -v2, v3, 1.0
	v_fmac_f32_e32 v3, v6, v3
	s_delay_alu instid0(VALU_DEP_1) | instskip(NEXT) | instid1(VALU_DEP_1)
	v_mul_f32_e32 v6, v7, v3
	v_fma_f32 v9, -v2, v6, v7
	s_delay_alu instid0(VALU_DEP_1) | instskip(NEXT) | instid1(VALU_DEP_1)
	v_fmac_f32_e32 v6, v9, v3
	v_fma_f32 v2, -v2, v6, v7
	s_delay_alu instid0(VALU_DEP_1) | instskip(SKIP_2) | instid1(VALU_DEP_3)
	v_div_fmas_f32 v6, v2, v3, v6
	v_add_co_u32 v2, vcc_lo, v0, s6
	v_add_co_ci_u32_e32 v3, vcc_lo, s7, v1, vcc_lo
	v_div_fixup_f32 v4, v6, v10, v4
	global_store_b32 v[2:3], v4, off
	s_cbranch_scc1 .LBB20_201
.LBB20_202:
	s_set_inst_prefetch_distance 0x2
	s_nop 0
	s_sendmsg sendmsg(MSG_DEALLOC_VGPRS)
	s_endpgm
	.section	.rodata,"a",@progbits
	.p2align	6, 0x0
	.amdhsa_kernel _Z29moe_fused_gate_kernel_dynamicIDF16_EvPvS0_PfPilllllldi
		.amdhsa_group_segment_fixed_size 0
		.amdhsa_private_segment_fixed_size 272
		.amdhsa_kernarg_size 92
		.amdhsa_user_sgpr_count 15
		.amdhsa_user_sgpr_dispatch_ptr 0
		.amdhsa_user_sgpr_queue_ptr 0
		.amdhsa_user_sgpr_kernarg_segment_ptr 1
		.amdhsa_user_sgpr_dispatch_id 0
		.amdhsa_user_sgpr_private_segment_size 0
		.amdhsa_wavefront_size32 1
		.amdhsa_uses_dynamic_stack 0
		.amdhsa_enable_private_segment 1
		.amdhsa_system_sgpr_workgroup_id_x 1
		.amdhsa_system_sgpr_workgroup_id_y 0
		.amdhsa_system_sgpr_workgroup_id_z 0
		.amdhsa_system_sgpr_workgroup_info 0
		.amdhsa_system_vgpr_workitem_id 1
		.amdhsa_next_free_vgpr 29
		.amdhsa_next_free_sgpr 37
		.amdhsa_reserve_vcc 1
		.amdhsa_float_round_mode_32 0
		.amdhsa_float_round_mode_16_64 0
		.amdhsa_float_denorm_mode_32 3
		.amdhsa_float_denorm_mode_16_64 3
		.amdhsa_dx10_clamp 1
		.amdhsa_ieee_mode 1
		.amdhsa_fp16_overflow 0
		.amdhsa_workgroup_processor_mode 1
		.amdhsa_memory_ordered 1
		.amdhsa_forward_progress 0
		.amdhsa_shared_vgpr_count 0
		.amdhsa_exception_fp_ieee_invalid_op 0
		.amdhsa_exception_fp_denorm_src 0
		.amdhsa_exception_fp_ieee_div_zero 0
		.amdhsa_exception_fp_ieee_overflow 0
		.amdhsa_exception_fp_ieee_underflow 0
		.amdhsa_exception_fp_ieee_inexact 0
		.amdhsa_exception_int_div_zero 0
	.end_amdhsa_kernel
	.section	.text._Z29moe_fused_gate_kernel_dynamicIDF16_EvPvS0_PfPilllllldi,"axG",@progbits,_Z29moe_fused_gate_kernel_dynamicIDF16_EvPvS0_PfPilllllldi,comdat
.Lfunc_end20:
	.size	_Z29moe_fused_gate_kernel_dynamicIDF16_EvPvS0_PfPilllllldi, .Lfunc_end20-_Z29moe_fused_gate_kernel_dynamicIDF16_EvPvS0_PfPilllllldi
                                        ; -- End function
	.section	.AMDGPU.csdata,"",@progbits
; Kernel info:
; codeLenInByte = 10420
; NumSgprs: 39
; NumVgprs: 29
; ScratchSize: 272
; MemoryBound: 0
; FloatMode: 240
; IeeeMode: 1
; LDSByteSize: 0 bytes/workgroup (compile time only)
; SGPRBlocks: 4
; VGPRBlocks: 3
; NumSGPRsForWavesPerEU: 39
; NumVGPRsForWavesPerEU: 29
; Occupancy: 16
; WaveLimiterHint : 0
; COMPUTE_PGM_RSRC2:SCRATCH_EN: 1
; COMPUTE_PGM_RSRC2:USER_SGPR: 15
; COMPUTE_PGM_RSRC2:TRAP_HANDLER: 0
; COMPUTE_PGM_RSRC2:TGID_X_EN: 1
; COMPUTE_PGM_RSRC2:TGID_Y_EN: 0
; COMPUTE_PGM_RSRC2:TGID_Z_EN: 0
; COMPUTE_PGM_RSRC2:TIDIG_COMP_CNT: 1
	.section	.text._Z29moe_fused_gate_kernel_dynamicIfEvPvS0_PfPilllllldi,"axG",@progbits,_Z29moe_fused_gate_kernel_dynamicIfEvPvS0_PfPilllllldi,comdat
	.protected	_Z29moe_fused_gate_kernel_dynamicIfEvPvS0_PfPilllllldi ; -- Begin function _Z29moe_fused_gate_kernel_dynamicIfEvPvS0_PfPilllllldi
	.globl	_Z29moe_fused_gate_kernel_dynamicIfEvPvS0_PfPilllllldi
	.p2align	8
	.type	_Z29moe_fused_gate_kernel_dynamicIfEvPvS0_PfPilllllldi,@function
_Z29moe_fused_gate_kernel_dynamicIfEvPvS0_PfPilllllldi: ; @_Z29moe_fused_gate_kernel_dynamicIfEvPvS0_PfPilllllldi
; %bb.0:
	s_load_b512 s[16:31], s[0:1], 0x0
	s_waitcnt lgkmcnt(0)
	s_or_b64 s[2:3], s[26:27], s[28:29]
	s_mov_b32 s2, 0
	s_delay_alu instid0(SALU_CYCLE_1)
	s_cmp_lg_u64 s[2:3], 0
	s_cbranch_scc0 .LBB21_21
; %bb.1:
	s_ashr_i32 s4, s29, 31
	s_delay_alu instid0(SALU_CYCLE_1) | instskip(SKIP_2) | instid1(SALU_CYCLE_1)
	s_add_u32 s6, s28, s4
	s_mov_b32 s5, s4
	s_addc_u32 s7, s29, s4
	s_xor_b64 s[6:7], s[6:7], s[4:5]
	s_delay_alu instid0(SALU_CYCLE_1) | instskip(SKIP_3) | instid1(VALU_DEP_1)
	v_cvt_f32_u32_e32 v1, s6
	v_cvt_f32_u32_e32 v2, s7
	s_sub_u32 s9, 0, s6
	s_subb_u32 s10, 0, s7
	v_fmamk_f32 v1, v2, 0x4f800000, v1
	s_delay_alu instid0(VALU_DEP_1) | instskip(SKIP_2) | instid1(VALU_DEP_1)
	v_rcp_f32_e32 v1, v1
	s_waitcnt_depctr 0xfff
	v_mul_f32_e32 v1, 0x5f7ffffc, v1
	v_mul_f32_e32 v2, 0x2f800000, v1
	s_delay_alu instid0(VALU_DEP_1) | instskip(NEXT) | instid1(VALU_DEP_1)
	v_trunc_f32_e32 v2, v2
	v_fmamk_f32 v1, v2, 0xcf800000, v1
	v_cvt_u32_f32_e32 v2, v2
	s_delay_alu instid0(VALU_DEP_2) | instskip(NEXT) | instid1(VALU_DEP_2)
	v_cvt_u32_f32_e32 v1, v1
	v_readfirstlane_b32 s3, v2
	s_delay_alu instid0(VALU_DEP_2) | instskip(NEXT) | instid1(VALU_DEP_2)
	v_readfirstlane_b32 s8, v1
	s_mul_i32 s11, s9, s3
	s_delay_alu instid0(VALU_DEP_1)
	s_mul_hi_u32 s13, s9, s8
	s_mul_i32 s12, s10, s8
	s_add_i32 s11, s13, s11
	s_mul_i32 s14, s9, s8
	s_add_i32 s11, s11, s12
	s_mul_hi_u32 s13, s8, s14
	s_mul_hi_u32 s33, s3, s14
	s_mul_i32 s12, s3, s14
	s_mul_hi_u32 s14, s8, s11
	s_mul_i32 s8, s8, s11
	s_mul_hi_u32 s34, s3, s11
	s_add_u32 s8, s13, s8
	s_addc_u32 s13, 0, s14
	s_add_u32 s8, s8, s12
	s_mul_i32 s11, s3, s11
	s_addc_u32 s8, s13, s33
	s_addc_u32 s12, s34, 0
	s_add_u32 s8, s8, s11
	s_addc_u32 s11, 0, s12
	v_add_co_u32 v1, s8, v1, s8
	s_delay_alu instid0(VALU_DEP_1) | instskip(SKIP_1) | instid1(VALU_DEP_1)
	s_cmp_lg_u32 s8, 0
	s_addc_u32 s3, s3, s11
	v_readfirstlane_b32 s8, v1
	s_mul_i32 s11, s9, s3
	s_delay_alu instid0(VALU_DEP_1)
	s_mul_hi_u32 s12, s9, s8
	s_mul_i32 s10, s10, s8
	s_add_i32 s11, s12, s11
	s_mul_i32 s9, s9, s8
	s_add_i32 s11, s11, s10
	s_mul_hi_u32 s12, s3, s9
	s_mul_i32 s13, s3, s9
	s_mul_hi_u32 s9, s8, s9
	s_mul_hi_u32 s14, s8, s11
	s_mul_i32 s8, s8, s11
	s_mul_hi_u32 s10, s3, s11
	s_add_u32 s8, s9, s8
	s_addc_u32 s9, 0, s14
	s_add_u32 s8, s8, s13
	s_mul_i32 s11, s3, s11
	s_addc_u32 s8, s9, s12
	s_addc_u32 s9, s10, 0
	s_add_u32 s8, s8, s11
	s_addc_u32 s9, 0, s9
	v_add_co_u32 v1, s8, v1, s8
	s_delay_alu instid0(VALU_DEP_1) | instskip(SKIP_2) | instid1(VALU_DEP_1)
	s_cmp_lg_u32 s8, 0
	s_addc_u32 s3, s3, s9
	s_ashr_i32 s8, s27, 31
	v_readfirstlane_b32 s12, v1
	s_add_u32 s10, s26, s8
	s_mov_b32 s9, s8
	s_addc_u32 s11, s27, s8
	s_delay_alu instid0(SALU_CYCLE_1) | instskip(NEXT) | instid1(SALU_CYCLE_1)
	s_xor_b64 s[10:11], s[10:11], s[8:9]
	s_mul_i32 s14, s10, s3
	s_mul_hi_u32 s33, s10, s12
	s_mul_hi_u32 s13, s10, s3
	;; [unrolled: 1-line block ×3, first 2 shown]
	s_mul_i32 s12, s11, s12
	s_add_u32 s14, s33, s14
	s_addc_u32 s13, 0, s13
	s_mul_hi_u32 s34, s11, s3
	s_add_u32 s12, s14, s12
	s_mul_i32 s3, s11, s3
	s_addc_u32 s12, s13, s35
	s_addc_u32 s13, s34, 0
	s_add_u32 s3, s12, s3
	s_addc_u32 s12, 0, s13
	s_mul_i32 s34, s6, s3
	s_mul_hi_u32 s13, s6, s3
	s_mul_i32 s33, s6, s12
	v_sub_co_u32 v1, s10, s10, s34
	s_mul_i32 s14, s7, s3
	s_add_i32 s13, s13, s33
	s_delay_alu instid0(SALU_CYCLE_1) | instskip(NEXT) | instid1(VALU_DEP_1)
	s_add_i32 s13, s13, s14
	v_sub_co_u32 v2, s33, v1, s6
	s_sub_i32 s14, s11, s13
	s_cmp_lg_u32 s10, 0
	s_subb_u32 s14, s14, s7
	s_cmp_lg_u32 s33, 0
	v_readfirstlane_b32 s33, v2
	s_subb_u32 s14, s14, 0
	s_delay_alu instid0(SALU_CYCLE_1) | instskip(SKIP_1) | instid1(VALU_DEP_1)
	s_cmp_ge_u32 s14, s7
	s_cselect_b32 s34, -1, 0
	s_cmp_ge_u32 s33, s6
	s_cselect_b32 s33, -1, 0
	s_cmp_eq_u32 s14, s7
	s_cselect_b32 s14, s33, s34
	s_add_u32 s33, s3, 1
	s_addc_u32 s34, s12, 0
	s_add_u32 s35, s3, 2
	s_addc_u32 s36, s12, 0
	s_cmp_lg_u32 s14, 0
	s_cselect_b32 s14, s35, s33
	s_cselect_b32 s33, s36, s34
	s_cmp_lg_u32 s10, 0
	v_readfirstlane_b32 s10, v1
	s_subb_u32 s11, s11, s13
	s_delay_alu instid0(SALU_CYCLE_1) | instskip(SKIP_1) | instid1(VALU_DEP_1)
	s_cmp_ge_u32 s11, s7
	s_cselect_b32 s13, -1, 0
	s_cmp_ge_u32 s10, s6
	s_cselect_b32 s6, -1, 0
	s_cmp_eq_u32 s11, s7
	s_cselect_b32 s6, s6, s13
	s_delay_alu instid0(SALU_CYCLE_1) | instskip(SKIP_3) | instid1(SALU_CYCLE_1)
	s_cmp_lg_u32 s6, 0
	s_cselect_b32 s7, s33, s12
	s_cselect_b32 s6, s14, s3
	s_xor_b64 s[4:5], s[8:9], s[4:5]
	s_xor_b64 s[6:7], s[6:7], s[4:5]
	s_delay_alu instid0(SALU_CYCLE_1)
	s_sub_u32 s8, s6, s4
	s_and_not1_b32 vcc_lo, exec_lo, s2
	s_cbranch_vccnz .LBB21_3
.LBB21_2:
	v_cvt_f32_u32_e32 v1, s28
	s_sub_i32 s3, 0, s28
	s_delay_alu instid0(VALU_DEP_1) | instskip(SKIP_2) | instid1(VALU_DEP_1)
	v_rcp_iflag_f32_e32 v1, v1
	s_waitcnt_depctr 0xfff
	v_mul_f32_e32 v1, 0x4f7ffffe, v1
	v_cvt_u32_f32_e32 v1, v1
	s_delay_alu instid0(VALU_DEP_1) | instskip(NEXT) | instid1(VALU_DEP_1)
	v_readfirstlane_b32 s2, v1
	s_mul_i32 s3, s3, s2
	s_delay_alu instid0(SALU_CYCLE_1) | instskip(NEXT) | instid1(SALU_CYCLE_1)
	s_mul_hi_u32 s3, s2, s3
	s_add_i32 s2, s2, s3
	s_delay_alu instid0(SALU_CYCLE_1) | instskip(NEXT) | instid1(SALU_CYCLE_1)
	s_mul_hi_u32 s2, s26, s2
	s_mul_i32 s3, s2, s28
	s_add_i32 s4, s2, 1
	s_sub_i32 s3, s26, s3
	s_delay_alu instid0(SALU_CYCLE_1)
	s_sub_i32 s5, s3, s28
	s_cmp_ge_u32 s3, s28
	s_cselect_b32 s2, s4, s2
	s_cselect_b32 s3, s5, s3
	s_add_i32 s4, s2, 1
	s_cmp_ge_u32 s3, s28
	s_cselect_b32 s8, s4, s2
.LBB21_3:
	s_mov_b32 s2, 0
	s_mov_b32 s3, s29
	s_delay_alu instid0(SALU_CYCLE_1)
	s_cmp_lg_u64 s[2:3], 0
	s_cbranch_scc0 .LBB21_22
; %bb.4:
	s_ashr_i32 s4, s29, 31
	s_delay_alu instid0(SALU_CYCLE_1) | instskip(SKIP_2) | instid1(SALU_CYCLE_1)
	s_add_u32 s6, s28, s4
	s_mov_b32 s5, s4
	s_addc_u32 s7, s29, s4
	s_xor_b64 s[6:7], s[6:7], s[4:5]
	s_delay_alu instid0(SALU_CYCLE_1) | instskip(SKIP_3) | instid1(VALU_DEP_1)
	v_cvt_f32_u32_e32 v1, s6
	v_cvt_f32_u32_e32 v2, s7
	s_sub_u32 s10, 0, s6
	s_subb_u32 s11, 0, s7
	v_fmamk_f32 v1, v2, 0x4f800000, v1
	s_delay_alu instid0(VALU_DEP_1) | instskip(SKIP_2) | instid1(VALU_DEP_1)
	v_rcp_f32_e32 v1, v1
	s_waitcnt_depctr 0xfff
	v_mul_f32_e32 v1, 0x5f7ffffc, v1
	v_mul_f32_e32 v2, 0x2f800000, v1
	s_delay_alu instid0(VALU_DEP_1) | instskip(NEXT) | instid1(VALU_DEP_1)
	v_trunc_f32_e32 v2, v2
	v_fmamk_f32 v1, v2, 0xcf800000, v1
	v_cvt_u32_f32_e32 v2, v2
	s_delay_alu instid0(VALU_DEP_2) | instskip(NEXT) | instid1(VALU_DEP_2)
	v_cvt_u32_f32_e32 v1, v1
	v_readfirstlane_b32 s3, v2
	s_delay_alu instid0(VALU_DEP_2) | instskip(NEXT) | instid1(VALU_DEP_2)
	v_readfirstlane_b32 s9, v1
	s_mul_i32 s12, s10, s3
	s_delay_alu instid0(VALU_DEP_1)
	s_mul_hi_u32 s14, s10, s9
	s_mul_i32 s13, s11, s9
	s_add_i32 s12, s14, s12
	s_mul_i32 s33, s10, s9
	s_add_i32 s12, s12, s13
	s_mul_hi_u32 s14, s9, s33
	s_mul_hi_u32 s34, s3, s33
	s_mul_i32 s13, s3, s33
	s_mul_hi_u32 s33, s9, s12
	s_mul_i32 s9, s9, s12
	s_mul_hi_u32 s35, s3, s12
	s_add_u32 s9, s14, s9
	s_addc_u32 s14, 0, s33
	s_add_u32 s9, s9, s13
	s_mul_i32 s12, s3, s12
	s_addc_u32 s9, s14, s34
	s_addc_u32 s13, s35, 0
	s_add_u32 s9, s9, s12
	s_addc_u32 s12, 0, s13
	v_add_co_u32 v1, s9, v1, s9
	s_delay_alu instid0(VALU_DEP_1) | instskip(SKIP_1) | instid1(VALU_DEP_1)
	s_cmp_lg_u32 s9, 0
	s_addc_u32 s3, s3, s12
	v_readfirstlane_b32 s9, v1
	s_mul_i32 s12, s10, s3
	s_delay_alu instid0(VALU_DEP_1)
	s_mul_hi_u32 s13, s10, s9
	s_mul_i32 s11, s11, s9
	s_add_i32 s12, s13, s12
	s_mul_i32 s10, s10, s9
	s_add_i32 s12, s12, s11
	s_mul_hi_u32 s13, s3, s10
	s_mul_i32 s14, s3, s10
	s_mul_hi_u32 s10, s9, s10
	s_mul_hi_u32 s33, s9, s12
	s_mul_i32 s9, s9, s12
	s_mul_hi_u32 s11, s3, s12
	s_add_u32 s9, s10, s9
	s_addc_u32 s10, 0, s33
	s_add_u32 s9, s9, s14
	s_mul_i32 s12, s3, s12
	s_addc_u32 s9, s10, s13
	s_addc_u32 s10, s11, 0
	s_add_u32 s9, s9, s12
	s_addc_u32 s10, 0, s10
	v_add_co_u32 v1, s9, v1, s9
	s_delay_alu instid0(VALU_DEP_1) | instskip(SKIP_1) | instid1(SALU_CYCLE_1)
	s_cmp_lg_u32 s9, 0
	s_addc_u32 s3, s3, s10
	s_lshr_b32 s3, s3, 27
	s_delay_alu instid0(SALU_CYCLE_1)
	s_mul_i32 s9, s7, s3
	s_mul_hi_u32 s10, s6, s3
	s_mul_i32 s11, s6, s3
	s_add_i32 s10, s10, s9
	v_sub_co_u32 v1, s9, 32, s11
	s_sub_i32 s11, 0, s10
	s_cmp_lg_u32 s9, 0
	s_delay_alu instid0(VALU_DEP_1) | instskip(SKIP_2) | instid1(VALU_DEP_1)
	v_sub_co_u32 v2, s12, v1, s6
	s_subb_u32 s11, s11, s7
	s_cmp_lg_u32 s12, 0
	v_readfirstlane_b32 s12, v2
	s_subb_u32 s11, s11, 0
	s_delay_alu instid0(SALU_CYCLE_1) | instskip(SKIP_1) | instid1(VALU_DEP_1)
	s_cmp_ge_u32 s11, s7
	s_cselect_b32 s13, -1, 0
	s_cmp_ge_u32 s12, s6
	s_cselect_b32 s12, -1, 0
	s_cmp_eq_u32 s11, s7
	s_cselect_b32 s11, s12, s13
	s_add_u32 s12, s3, 1
	s_addc_u32 s13, 0, 0
	s_add_u32 s14, s3, 2
	s_addc_u32 s33, 0, 0
	s_cmp_lg_u32 s11, 0
	s_cselect_b32 s11, s14, s12
	s_cselect_b32 s12, s33, s13
	s_cmp_lg_u32 s9, 0
	v_readfirstlane_b32 s9, v1
	s_subb_u32 s10, 0, s10
	s_delay_alu instid0(SALU_CYCLE_1) | instskip(SKIP_1) | instid1(VALU_DEP_1)
	s_cmp_ge_u32 s10, s7
	s_cselect_b32 s13, -1, 0
	s_cmp_ge_u32 s9, s6
	s_cselect_b32 s6, -1, 0
	s_cmp_eq_u32 s10, s7
	s_cselect_b32 s6, s6, s13
	s_delay_alu instid0(SALU_CYCLE_1) | instskip(SKIP_2) | instid1(SALU_CYCLE_1)
	s_cmp_lg_u32 s6, 0
	s_cselect_b32 s7, s12, 0
	s_cselect_b32 s6, s11, s3
	s_xor_b64 s[6:7], s[6:7], s[4:5]
	s_delay_alu instid0(SALU_CYCLE_1)
	s_sub_u32 s6, s6, s4
	s_subb_u32 s7, s7, s4
	s_and_not1_b32 vcc_lo, exec_lo, s2
	s_cbranch_vccnz .LBB21_6
.LBB21_5:
	v_cvt_f32_u32_e32 v1, s28
	s_sub_i32 s3, 0, s28
	s_mov_b32 s7, 0
	s_delay_alu instid0(VALU_DEP_1) | instskip(SKIP_2) | instid1(VALU_DEP_1)
	v_rcp_iflag_f32_e32 v1, v1
	s_waitcnt_depctr 0xfff
	v_mul_f32_e32 v1, 0x4f7ffffe, v1
	v_cvt_u32_f32_e32 v1, v1
	s_delay_alu instid0(VALU_DEP_1) | instskip(NEXT) | instid1(VALU_DEP_1)
	v_readfirstlane_b32 s2, v1
	s_mul_i32 s3, s3, s2
	s_delay_alu instid0(SALU_CYCLE_1) | instskip(NEXT) | instid1(SALU_CYCLE_1)
	s_mul_hi_u32 s3, s2, s3
	s_add_i32 s2, s2, s3
	s_delay_alu instid0(SALU_CYCLE_1) | instskip(NEXT) | instid1(SALU_CYCLE_1)
	s_lshr_b32 s2, s2, 27
	s_mul_i32 s3, s2, s28
	s_add_i32 s4, s2, 1
	s_sub_i32 s3, 32, s3
	s_delay_alu instid0(SALU_CYCLE_1)
	s_sub_i32 s5, s3, s28
	s_cmp_ge_u32 s3, s28
	s_cselect_b32 s2, s4, s2
	s_cselect_b32 s3, s5, s3
	s_add_i32 s4, s2, 1
	s_cmp_ge_u32 s3, s28
	s_cselect_b32 s6, s4, s2
.LBB21_6:
	s_delay_alu instid0(SALU_CYCLE_1) | instskip(NEXT) | instid1(VALU_DEP_1)
	v_cmp_gt_i64_e64 s2, s[6:7], 1
	s_and_b32 s2, s2, exec_lo
	s_cselect_b32 s2, s6, 1
	s_abs_i32 s3, s28
	s_delay_alu instid0(SALU_CYCLE_1) | instskip(SKIP_1) | instid1(VALU_DEP_1)
	v_cvt_f32_u32_e32 v1, s3
	s_sub_i32 s4, 0, s3
	v_rcp_iflag_f32_e32 v1, v1
	s_waitcnt_depctr 0xfff
	v_mul_f32_e32 v1, 0x4f7ffffe, v1
	s_delay_alu instid0(VALU_DEP_1) | instskip(NEXT) | instid1(VALU_DEP_1)
	v_cvt_u32_f32_e32 v1, v1
	v_mul_lo_u32 v2, s4, v1
	s_mov_b32 s4, 0
	s_delay_alu instid0(VALU_DEP_1) | instskip(SKIP_2) | instid1(VALU_DEP_3)
	v_mul_hi_u32 v3, v1, v2
	v_and_b32_e32 v2, 0x3ff, v0
	v_bfe_u32 v0, v0, 10, 10
	v_add_nc_u32_e32 v1, v1, v3
	s_delay_alu instid0(VALU_DEP_1) | instskip(NEXT) | instid1(VALU_DEP_1)
	v_mul_hi_u32 v1, v2, v1
	v_mul_lo_u32 v3, v1, s3
	v_add_nc_u32_e32 v4, 1, v1
	s_delay_alu instid0(VALU_DEP_2) | instskip(NEXT) | instid1(VALU_DEP_1)
	v_sub_nc_u32_e32 v3, v2, v3
	v_subrev_nc_u32_e32 v5, s3, v3
	v_cmp_le_u32_e32 vcc_lo, s3, v3
	s_delay_alu instid0(VALU_DEP_4) | instskip(NEXT) | instid1(VALU_DEP_3)
	v_cndmask_b32_e32 v1, v1, v4, vcc_lo
	v_cndmask_b32_e32 v3, v3, v5, vcc_lo
	s_delay_alu instid0(VALU_DEP_2) | instskip(NEXT) | instid1(VALU_DEP_2)
	v_add_nc_u32_e32 v4, 1, v1
	v_cmp_le_u32_e32 vcc_lo, s3, v3
	s_ashr_i32 s3, s28, 31
	v_add_nc_u32_e32 v3, s15, v0
	s_delay_alu instid0(VALU_DEP_3) | instskip(NEXT) | instid1(VALU_DEP_1)
	v_cndmask_b32_e32 v1, v1, v4, vcc_lo
	v_xor_b32_e32 v1, s3, v1
	s_delay_alu instid0(VALU_DEP_1) | instskip(NEXT) | instid1(VALU_DEP_1)
	v_subrev_nc_u32_e32 v4, s3, v1
	v_mad_u64_u32 v[0:1], null, v3, s2, v[4:5]
	v_mov_b32_e32 v1, 0
	s_mov_b32 s2, exec_lo
	s_delay_alu instid0(VALU_DEP_1)
	v_cmpx_gt_i64_e64 s[24:25], v[0:1]
	s_cbranch_execz .LBB21_202
; %bb.7:
	v_mul_lo_u32 v3, v4, s28
	s_mov_b32 s7, s4
	s_mov_b32 s5, s4
	;; [unrolled: 1-line block ×3, first 2 shown]
	s_delay_alu instid0(SALU_CYCLE_1) | instskip(SKIP_1) | instid1(VALU_DEP_3)
	v_dual_mov_b32 v13, s7 :: v_dual_mov_b32 v12, s6
	v_dual_mov_b32 v11, s5 :: v_dual_mov_b32 v10, s4
	v_sub_nc_u32_e32 v9, v2, v3
	v_dual_mov_b32 v5, 0xff7fffff :: v_dual_mov_b32 v6, 0xff7fffff
	v_mov_b32_e32 v3, v1
	s_cmp_gt_i32 s8, 0
	s_delay_alu instid0(VALU_DEP_3)
	v_mul_lo_u32 v2, v9, s8
	s_cselect_b32 s14, -1, 0
	s_cmp_lt_i32 s8, 1
	s_clause 0xf
	scratch_store_b128 off, v[10:13], off offset:112
	scratch_store_b128 off, v[10:13], off offset:96
	scratch_store_b128 off, v[10:13], off offset:80
	scratch_store_b128 off, v[10:13], off offset:64
	scratch_store_b128 off, v[10:13], off offset:48
	scratch_store_b128 off, v[10:13], off offset:32
	scratch_store_b128 off, v[10:13], off offset:16
	scratch_store_b128 off, v[10:13], off
	scratch_store_b128 off, v[10:13], off offset:240
	scratch_store_b128 off, v[10:13], off offset:224
	;; [unrolled: 1-line block ×8, first 2 shown]
	s_cbranch_scc1 .LBB21_78
; %bb.8:
	v_mad_u64_u32 v[5:6], null, s26, v0, 0
	s_bfe_i64 s[2:3], s[26:27], 0x200000
	s_mov_b32 s2, 0
	s_delay_alu instid0(VALU_DEP_1) | instskip(NEXT) | instid1(VALU_DEP_1)
	v_mov_b32_e32 v3, v6
	v_mad_u64_u32 v[6:7], null, s3, v0, v[3:4]
	v_ashrrev_i32_e32 v3, 31, v2
	s_mov_b32 s3, s8
	s_delay_alu instid0(VALU_DEP_1) | instskip(NEXT) | instid1(VALU_DEP_3)
	v_lshlrev_b64 v[7:8], 2, v[2:3]
	v_lshlrev_b64 v[5:6], 2, v[5:6]
	s_delay_alu instid0(VALU_DEP_1) | instskip(NEXT) | instid1(VALU_DEP_2)
	v_add_co_u32 v3, vcc_lo, s16, v5
	v_add_co_ci_u32_e32 v6, vcc_lo, s17, v6, vcc_lo
	s_delay_alu instid0(VALU_DEP_2) | instskip(NEXT) | instid1(VALU_DEP_2)
	v_add_co_u32 v5, vcc_lo, v3, v7
	v_add_co_ci_u32_e32 v6, vcc_lo, v6, v8, vcc_lo
	v_add_co_u32 v7, vcc_lo, s18, v7
	v_add_co_ci_u32_e32 v8, vcc_lo, s19, v8, vcc_lo
	.p2align	6
.LBB21_9:                               ; =>This Inner Loop Header: Depth=1
	global_load_b32 v3, v[5:6], off
	global_load_b32 v10, v[7:8], off
	v_add_co_u32 v5, vcc_lo, v5, 4
	v_add_co_ci_u32_e32 v6, vcc_lo, 0, v6, vcc_lo
	v_add_co_u32 v7, vcc_lo, v7, 4
	v_add_co_ci_u32_e32 v8, vcc_lo, 0, v8, vcc_lo
	s_add_i32 s3, s3, -1
	s_add_i32 s4, s2, 0
	s_add_i32 s5, s2, 0x80
	;; [unrolled: 1-line block ×3, first 2 shown]
	s_cmp_lg_u32 s3, 0
	s_waitcnt vmcnt(1)
	scratch_store_b32 off, v3, s4
	s_waitcnt vmcnt(0)
	scratch_store_b32 off, v10, s5
	s_cbranch_scc1 .LBB21_9
; %bb.10:
	s_cmp_lt_u32 s8, 4
	s_mov_b32 s2, 0
	s_cbranch_scc1 .LBB21_23
; %bb.11:
	s_and_b32 s2, s8, 0x7ffffffc
	s_or_b32 s3, 0, 8
	s_mov_b32 s4, 0
	s_branch .LBB21_13
.LBB21_12:                              ;   in Loop: Header=BB21_13 Depth=1
	s_or_b32 exec_lo, exec_lo, s6
	s_add_i32 s4, s4, 4
	s_add_i32 s3, s3, 16
	s_cmp_lg_u32 s2, s4
	scratch_store_b32 off, v5, s5
	s_cbranch_scc0 .LBB21_23
.LBB21_13:                              ; =>This Inner Loop Header: Depth=1
	scratch_load_b32 v5, off, s3 offset:-8
	v_dual_mov_b32 v3, 0 :: v_dual_mov_b32 v6, 0
	s_mov_b32 s5, exec_lo
	s_waitcnt vmcnt(0)
	v_cmpx_o_f32_e32 v5, v5
	s_cbranch_execz .LBB21_15
; %bb.14:                               ;   in Loop: Header=BB21_13 Depth=1
	v_mul_f32_e32 v6, 0xbfb8aa3b, v5
	v_cmp_nlt_f32_e32 vcc_lo, 0x42ce8ed0, v5
	s_delay_alu instid0(VALU_DEP_2) | instskip(SKIP_1) | instid1(VALU_DEP_2)
	v_rndne_f32_e32 v7, v6
	v_fma_f32 v8, 0xbfb8aa3b, v5, -v6
	v_sub_f32_e32 v6, v6, v7
	s_delay_alu instid0(VALU_DEP_2) | instskip(SKIP_1) | instid1(VALU_DEP_2)
	v_fmac_f32_e32 v8, 0xb2a5705f, v5
	v_cvt_i32_f32_e32 v7, v7
	v_add_f32_e32 v6, v6, v8
	s_delay_alu instid0(VALU_DEP_1) | instskip(SKIP_2) | instid1(VALU_DEP_1)
	v_exp_f32_e32 v6, v6
	s_waitcnt_depctr 0xfff
	v_ldexp_f32 v6, v6, v7
	v_cndmask_b32_e32 v6, 0, v6, vcc_lo
	v_cmp_ngt_f32_e32 vcc_lo, 0xc2b17218, v5
	s_delay_alu instid0(VALU_DEP_2) | instskip(NEXT) | instid1(VALU_DEP_1)
	v_cndmask_b32_e32 v5, 0x7f800000, v6, vcc_lo
	v_add_f32_e32 v5, 1.0, v5
	s_delay_alu instid0(VALU_DEP_1) | instskip(NEXT) | instid1(VALU_DEP_1)
	v_div_scale_f32 v6, null, v5, v5, 1.0
	v_rcp_f32_e32 v7, v6
	s_waitcnt_depctr 0xfff
	v_fma_f32 v8, -v6, v7, 1.0
	s_delay_alu instid0(VALU_DEP_1) | instskip(SKIP_1) | instid1(VALU_DEP_1)
	v_fmac_f32_e32 v7, v8, v7
	v_div_scale_f32 v8, vcc_lo, 1.0, v5, 1.0
	v_mul_f32_e32 v10, v8, v7
	s_delay_alu instid0(VALU_DEP_1) | instskip(NEXT) | instid1(VALU_DEP_1)
	v_fma_f32 v11, -v6, v10, v8
	v_fmac_f32_e32 v10, v11, v7
	s_delay_alu instid0(VALU_DEP_1) | instskip(NEXT) | instid1(VALU_DEP_1)
	v_fma_f32 v6, -v6, v10, v8
	v_div_fmas_f32 v6, v6, v7, v10
	s_delay_alu instid0(VALU_DEP_1)
	v_div_fixup_f32 v6, v6, v5, 1.0
.LBB21_15:                              ;   in Loop: Header=BB21_13 Depth=1
	s_or_b32 exec_lo, exec_lo, s5
	scratch_load_b32 v5, off, s3 offset:-4
	s_mov_b32 s5, exec_lo
	scratch_store_b32 off, v6, s3 offset:-8
	s_waitcnt vmcnt(0)
	v_cmpx_o_f32_e32 v5, v5
	s_cbranch_execz .LBB21_17
; %bb.16:                               ;   in Loop: Header=BB21_13 Depth=1
	v_mul_f32_e32 v3, 0xbfb8aa3b, v5
	v_cmp_nlt_f32_e32 vcc_lo, 0x42ce8ed0, v5
	s_delay_alu instid0(VALU_DEP_2) | instskip(SKIP_1) | instid1(VALU_DEP_2)
	v_rndne_f32_e32 v6, v3
	v_fma_f32 v7, 0xbfb8aa3b, v5, -v3
	v_sub_f32_e32 v3, v3, v6
	s_delay_alu instid0(VALU_DEP_2) | instskip(SKIP_1) | instid1(VALU_DEP_2)
	v_fmac_f32_e32 v7, 0xb2a5705f, v5
	v_cvt_i32_f32_e32 v6, v6
	v_add_f32_e32 v3, v3, v7
	s_delay_alu instid0(VALU_DEP_1) | instskip(SKIP_2) | instid1(VALU_DEP_1)
	v_exp_f32_e32 v3, v3
	s_waitcnt_depctr 0xfff
	v_ldexp_f32 v3, v3, v6
	v_cndmask_b32_e32 v3, 0, v3, vcc_lo
	v_cmp_ngt_f32_e32 vcc_lo, 0xc2b17218, v5
	s_delay_alu instid0(VALU_DEP_2) | instskip(NEXT) | instid1(VALU_DEP_1)
	v_cndmask_b32_e32 v3, 0x7f800000, v3, vcc_lo
	v_add_f32_e32 v3, 1.0, v3
	s_delay_alu instid0(VALU_DEP_1) | instskip(NEXT) | instid1(VALU_DEP_1)
	v_div_scale_f32 v5, null, v3, v3, 1.0
	v_rcp_f32_e32 v6, v5
	s_waitcnt_depctr 0xfff
	v_fma_f32 v7, -v5, v6, 1.0
	s_delay_alu instid0(VALU_DEP_1) | instskip(SKIP_1) | instid1(VALU_DEP_1)
	v_fmac_f32_e32 v6, v7, v6
	v_div_scale_f32 v7, vcc_lo, 1.0, v3, 1.0
	v_mul_f32_e32 v8, v7, v6
	s_delay_alu instid0(VALU_DEP_1) | instskip(NEXT) | instid1(VALU_DEP_1)
	v_fma_f32 v10, -v5, v8, v7
	v_fmac_f32_e32 v8, v10, v6
	s_delay_alu instid0(VALU_DEP_1) | instskip(NEXT) | instid1(VALU_DEP_1)
	v_fma_f32 v5, -v5, v8, v7
	v_div_fmas_f32 v5, v5, v6, v8
	s_delay_alu instid0(VALU_DEP_1)
	v_div_fixup_f32 v3, v5, v3, 1.0
.LBB21_17:                              ;   in Loop: Header=BB21_13 Depth=1
	s_or_b32 exec_lo, exec_lo, s5
	scratch_load_b32 v6, off, s3
	v_mov_b32_e32 v5, 0
	v_mov_b32_e32 v7, 0
	s_mov_b32 s5, exec_lo
	scratch_store_b32 off, v3, s3 offset:-4
	s_waitcnt vmcnt(0)
	v_cmpx_o_f32_e32 v6, v6
	s_cbranch_execz .LBB21_19
; %bb.18:                               ;   in Loop: Header=BB21_13 Depth=1
	v_mul_f32_e32 v3, 0xbfb8aa3b, v6
	v_cmp_nlt_f32_e32 vcc_lo, 0x42ce8ed0, v6
	s_delay_alu instid0(VALU_DEP_2) | instskip(SKIP_1) | instid1(VALU_DEP_1)
	v_rndne_f32_e32 v7, v3
	v_fma_f32 v8, 0xbfb8aa3b, v6, -v3
	v_dual_sub_f32 v3, v3, v7 :: v_dual_fmac_f32 v8, 0xb2a5705f, v6
	v_cvt_i32_f32_e32 v7, v7
	s_delay_alu instid0(VALU_DEP_2) | instskip(NEXT) | instid1(VALU_DEP_1)
	v_add_f32_e32 v3, v3, v8
	v_exp_f32_e32 v3, v3
	s_waitcnt_depctr 0xfff
	v_ldexp_f32 v3, v3, v7
	s_delay_alu instid0(VALU_DEP_1) | instskip(SKIP_1) | instid1(VALU_DEP_2)
	v_cndmask_b32_e32 v3, 0, v3, vcc_lo
	v_cmp_ngt_f32_e32 vcc_lo, 0xc2b17218, v6
	v_cndmask_b32_e32 v3, 0x7f800000, v3, vcc_lo
	s_delay_alu instid0(VALU_DEP_1) | instskip(NEXT) | instid1(VALU_DEP_1)
	v_add_f32_e32 v3, 1.0, v3
	v_div_scale_f32 v6, null, v3, v3, 1.0
	s_delay_alu instid0(VALU_DEP_1) | instskip(SKIP_2) | instid1(VALU_DEP_1)
	v_rcp_f32_e32 v7, v6
	s_waitcnt_depctr 0xfff
	v_fma_f32 v8, -v6, v7, 1.0
	v_fmac_f32_e32 v7, v8, v7
	v_div_scale_f32 v8, vcc_lo, 1.0, v3, 1.0
	s_delay_alu instid0(VALU_DEP_1) | instskip(NEXT) | instid1(VALU_DEP_1)
	v_mul_f32_e32 v10, v8, v7
	v_fma_f32 v11, -v6, v10, v8
	s_delay_alu instid0(VALU_DEP_1) | instskip(NEXT) | instid1(VALU_DEP_1)
	v_fmac_f32_e32 v10, v11, v7
	v_fma_f32 v6, -v6, v10, v8
	s_delay_alu instid0(VALU_DEP_1) | instskip(NEXT) | instid1(VALU_DEP_1)
	v_div_fmas_f32 v6, v6, v7, v10
	v_div_fixup_f32 v7, v6, v3, 1.0
.LBB21_19:                              ;   in Loop: Header=BB21_13 Depth=1
	s_or_b32 exec_lo, exec_lo, s5
	s_add_i32 s5, s3, 4
	s_mov_b32 s6, exec_lo
	scratch_load_b32 v3, off, s5
	scratch_store_b32 off, v7, s3
	s_waitcnt vmcnt(0)
	v_cmpx_o_f32_e32 v3, v3
	s_cbranch_execz .LBB21_12
; %bb.20:                               ;   in Loop: Header=BB21_13 Depth=1
	v_mul_f32_e32 v5, 0xbfb8aa3b, v3
	v_cmp_nlt_f32_e32 vcc_lo, 0x42ce8ed0, v3
	s_delay_alu instid0(VALU_DEP_2) | instskip(SKIP_1) | instid1(VALU_DEP_2)
	v_rndne_f32_e32 v6, v5
	v_fma_f32 v7, 0xbfb8aa3b, v3, -v5
	v_sub_f32_e32 v5, v5, v6
	s_delay_alu instid0(VALU_DEP_2) | instskip(SKIP_1) | instid1(VALU_DEP_2)
	v_fmac_f32_e32 v7, 0xb2a5705f, v3
	v_cvt_i32_f32_e32 v6, v6
	v_add_f32_e32 v5, v5, v7
	s_delay_alu instid0(VALU_DEP_1) | instskip(SKIP_2) | instid1(VALU_DEP_1)
	v_exp_f32_e32 v5, v5
	s_waitcnt_depctr 0xfff
	v_ldexp_f32 v5, v5, v6
	v_cndmask_b32_e32 v5, 0, v5, vcc_lo
	v_cmp_ngt_f32_e32 vcc_lo, 0xc2b17218, v3
	s_delay_alu instid0(VALU_DEP_2) | instskip(NEXT) | instid1(VALU_DEP_1)
	v_cndmask_b32_e32 v3, 0x7f800000, v5, vcc_lo
	v_add_f32_e32 v3, 1.0, v3
	s_delay_alu instid0(VALU_DEP_1) | instskip(NEXT) | instid1(VALU_DEP_1)
	v_div_scale_f32 v5, null, v3, v3, 1.0
	v_rcp_f32_e32 v6, v5
	s_waitcnt_depctr 0xfff
	v_fma_f32 v7, -v5, v6, 1.0
	s_delay_alu instid0(VALU_DEP_1) | instskip(SKIP_1) | instid1(VALU_DEP_1)
	v_fmac_f32_e32 v6, v7, v6
	v_div_scale_f32 v7, vcc_lo, 1.0, v3, 1.0
	v_mul_f32_e32 v8, v7, v6
	s_delay_alu instid0(VALU_DEP_1) | instskip(NEXT) | instid1(VALU_DEP_1)
	v_fma_f32 v10, -v5, v8, v7
	v_fmac_f32_e32 v8, v10, v6
	s_delay_alu instid0(VALU_DEP_1) | instskip(NEXT) | instid1(VALU_DEP_1)
	v_fma_f32 v5, -v5, v8, v7
	v_div_fmas_f32 v5, v5, v6, v8
	s_delay_alu instid0(VALU_DEP_1)
	v_div_fixup_f32 v5, v5, v3, 1.0
	s_branch .LBB21_12
.LBB21_21:
                                        ; implicit-def: $sgpr8_sgpr9
	s_branch .LBB21_2
.LBB21_22:
                                        ; implicit-def: $sgpr6_sgpr7
	s_branch .LBB21_5
.LBB21_23:
	s_and_b32 s3, s8, 3
	s_mov_b32 s5, 0
	s_cmp_eq_u32 s3, 0
	s_cbranch_scc1 .LBB21_28
; %bb.24:
	s_lshl_b32 s2, s2, 2
	s_delay_alu instid0(SALU_CYCLE_1)
	v_add_nc_u32_e64 v3, s2, 0
	s_branch .LBB21_26
.LBB21_25:                              ;   in Loop: Header=BB21_26 Depth=1
	s_or_b32 exec_lo, exec_lo, s2
	scratch_store_b32 v3, v6, off
	v_add_nc_u32_e32 v3, 4, v3
	s_add_i32 s3, s3, -1
	s_delay_alu instid0(SALU_CYCLE_1)
	s_cmp_lg_u32 s3, 0
	s_cbranch_scc0 .LBB21_28
.LBB21_26:                              ; =>This Inner Loop Header: Depth=1
	scratch_load_b32 v5, v3, off
	v_mov_b32_e32 v6, 0
	s_mov_b32 s2, exec_lo
	s_waitcnt vmcnt(0)
	v_cmpx_o_f32_e32 v5, v5
	s_cbranch_execz .LBB21_25
; %bb.27:                               ;   in Loop: Header=BB21_26 Depth=1
	v_mul_f32_e32 v6, 0xbfb8aa3b, v5
	v_cmp_nlt_f32_e32 vcc_lo, 0x42ce8ed0, v5
	s_delay_alu instid0(VALU_DEP_2) | instskip(SKIP_1) | instid1(VALU_DEP_2)
	v_rndne_f32_e32 v7, v6
	v_fma_f32 v8, 0xbfb8aa3b, v5, -v6
	v_sub_f32_e32 v6, v6, v7
	s_delay_alu instid0(VALU_DEP_2) | instskip(SKIP_1) | instid1(VALU_DEP_2)
	v_fmac_f32_e32 v8, 0xb2a5705f, v5
	v_cvt_i32_f32_e32 v7, v7
	v_add_f32_e32 v6, v6, v8
	s_delay_alu instid0(VALU_DEP_1) | instskip(SKIP_2) | instid1(VALU_DEP_1)
	v_exp_f32_e32 v6, v6
	s_waitcnt_depctr 0xfff
	v_ldexp_f32 v6, v6, v7
	v_cndmask_b32_e32 v6, 0, v6, vcc_lo
	v_cmp_ngt_f32_e32 vcc_lo, 0xc2b17218, v5
	s_delay_alu instid0(VALU_DEP_2) | instskip(NEXT) | instid1(VALU_DEP_1)
	v_cndmask_b32_e32 v5, 0x7f800000, v6, vcc_lo
	v_add_f32_e32 v5, 1.0, v5
	s_delay_alu instid0(VALU_DEP_1) | instskip(NEXT) | instid1(VALU_DEP_1)
	v_div_scale_f32 v6, null, v5, v5, 1.0
	v_rcp_f32_e32 v7, v6
	s_waitcnt_depctr 0xfff
	v_fma_f32 v8, -v6, v7, 1.0
	s_delay_alu instid0(VALU_DEP_1) | instskip(SKIP_1) | instid1(VALU_DEP_1)
	v_fmac_f32_e32 v7, v8, v7
	v_div_scale_f32 v8, vcc_lo, 1.0, v5, 1.0
	v_mul_f32_e32 v10, v8, v7
	s_delay_alu instid0(VALU_DEP_1) | instskip(NEXT) | instid1(VALU_DEP_1)
	v_fma_f32 v11, -v6, v10, v8
	v_fmac_f32_e32 v10, v11, v7
	s_delay_alu instid0(VALU_DEP_1) | instskip(NEXT) | instid1(VALU_DEP_1)
	v_fma_f32 v6, -v6, v10, v8
	v_div_fmas_f32 v6, v6, v7, v10
	s_delay_alu instid0(VALU_DEP_1)
	v_div_fixup_f32 v6, v6, v5, 1.0
	s_branch .LBB21_25
.LBB21_28:
	s_cmp_gt_u32 s8, 7
	s_cselect_b32 s6, -1, 0
	s_cmp_lt_u32 s8, 8
	s_cbranch_scc1 .LBB21_31
; %bb.29:
	s_and_b32 s5, s8, 0x7ffffff8
	s_mov_b32 s2, 0
	s_mov_b32 s3, 0
	s_set_inst_prefetch_distance 0x1
	.p2align	6
.LBB21_30:                              ; =>This Inner Loop Header: Depth=1
	s_add_i32 s4, s2, 0
	s_add_i32 s7, s2, 0x80
	scratch_load_b128 v[5:8], off, s4
	scratch_load_b128 v[10:13], off, s7
	v_add_nc_u32_e64 v3, s2, 0
	v_add_nc_u32_e64 v14, 0x80, s2
	s_add_i32 s3, s3, 8
	s_add_i32 s2, s2, 32
	s_cmp_lg_u32 s5, s3
	v_add_nc_u32_e32 v3, 16, v3
	s_waitcnt vmcnt(0)
	v_dual_add_f32 v7, v7, v12 :: v_dual_add_nc_u32 v22, 16, v14
	v_add_f32_e32 v8, v8, v13
	scratch_load_b128 v[14:17], v3, off
	scratch_load_b128 v[18:21], v22, off
	v_dual_add_f32 v5, v5, v10 :: v_dual_add_f32 v6, v6, v11
	s_waitcnt vmcnt(0)
	v_dual_add_f32 v10, v14, v18 :: v_dual_add_f32 v11, v15, v19
	v_dual_add_f32 v12, v16, v20 :: v_dual_add_f32 v13, v17, v21
	s_clause 0x1
	scratch_store_b128 off, v[5:8], s7
	scratch_store_b128 v22, v[10:13], off
	s_cbranch_scc1 .LBB21_30
.LBB21_31:
	s_set_inst_prefetch_distance 0x2
	s_and_b32 s2, s8, 7
	s_mov_b32 s4, 0
	s_cmp_lg_u32 s2, 0
	s_cselect_b32 s3, -1, 0
	s_cmp_eq_u32 s2, 0
	s_cbranch_scc1 .LBB21_34
; %bb.32:
	s_lshl_b32 s5, s5, 2
	s_delay_alu instid0(SALU_CYCLE_1)
	v_add_nc_u32_e64 v3, 0x80, s5
	v_add_nc_u32_e64 v5, s5, 0
	s_mov_b32 s5, s2
.LBB21_33:                              ; =>This Inner Loop Header: Depth=1
	scratch_load_b32 v6, v5, off
	scratch_load_b32 v7, v3, off
	s_add_i32 s5, s5, -1
	v_add_nc_u32_e32 v5, 4, v5
	s_cmp_lg_u32 s5, 0
	s_waitcnt vmcnt(0)
	v_add_f32_e32 v6, v6, v7
	scratch_store_b32 v3, v6, off
	v_add_nc_u32_e32 v3, 4, v3
	s_cbranch_scc1 .LBB21_33
.LBB21_34:
	v_mov_b32_e32 v6, 0xff7fffff
	s_and_not1_b32 vcc_lo, exec_lo, s6
	s_cbranch_vccnz .LBB21_69
; %bb.35:
	v_add_nc_u32_e64 v3, 0x80, 28
	v_dual_mov_b32 v5, 0xff7fffff :: v_dual_mov_b32 v6, 0xff7fffff
	s_and_b32 s4, s8, 0x7ffffff8
	s_mov_b32 s5, 0
	s_branch .LBB21_38
.LBB21_36:                              ;   in Loop: Header=BB21_38 Depth=1
	s_or_b32 exec_lo, exec_lo, s7
	s_delay_alu instid0(VALU_DEP_1)
	v_dual_mov_b32 v6, v10 :: v_dual_mov_b32 v5, v7
.LBB21_37:                              ;   in Loop: Header=BB21_38 Depth=1
	s_or_b32 exec_lo, exec_lo, s6
	v_add_nc_u32_e32 v3, 32, v3
	s_add_i32 s5, s5, 8
	s_delay_alu instid0(SALU_CYCLE_1)
	s_cmp_eq_u32 s4, s5
	s_cbranch_scc1 .LBB21_70
.LBB21_38:                              ; =>This Inner Loop Header: Depth=1
	scratch_load_b32 v7, v3, off offset:-28
	v_mov_b32_e32 v8, v5
	s_mov_b32 s6, exec_lo
	s_waitcnt vmcnt(0)
	v_cmpx_ngt_f32_e32 v7, v5
	s_cbranch_execz .LBB21_42
; %bb.39:                               ;   in Loop: Header=BB21_38 Depth=1
	s_mov_b32 s7, exec_lo
	v_cmpx_gt_f32_e32 v7, v6
; %bb.40:                               ;   in Loop: Header=BB21_38 Depth=1
	v_mov_b32_e32 v6, v7
; %bb.41:                               ;   in Loop: Header=BB21_38 Depth=1
	s_or_b32 exec_lo, exec_lo, s7
	s_delay_alu instid0(VALU_DEP_1)
	v_dual_mov_b32 v8, v6 :: v_dual_mov_b32 v7, v5
.LBB21_42:                              ;   in Loop: Header=BB21_38 Depth=1
	s_or_b32 exec_lo, exec_lo, s6
	scratch_load_b32 v5, v3, off offset:-24
	v_mov_b32_e32 v10, v7
	s_mov_b32 s6, exec_lo
	s_waitcnt vmcnt(0)
	v_cmpx_ngt_f32_e32 v5, v7
	s_cbranch_execz .LBB21_46
; %bb.43:                               ;   in Loop: Header=BB21_38 Depth=1
	s_mov_b32 s7, exec_lo
	v_cmpx_gt_f32_e32 v5, v8
; %bb.44:                               ;   in Loop: Header=BB21_38 Depth=1
	v_mov_b32_e32 v8, v5
; %bb.45:                               ;   in Loop: Header=BB21_38 Depth=1
	s_or_b32 exec_lo, exec_lo, s7
	s_delay_alu instid0(VALU_DEP_1)
	v_dual_mov_b32 v10, v8 :: v_dual_mov_b32 v5, v7
.LBB21_46:                              ;   in Loop: Header=BB21_38 Depth=1
	s_or_b32 exec_lo, exec_lo, s6
	scratch_load_b32 v6, v3, off offset:-20
	v_mov_b32_e32 v7, v5
	s_mov_b32 s6, exec_lo
	s_waitcnt vmcnt(0)
	v_cmpx_ngt_f32_e32 v6, v5
	s_cbranch_execz .LBB21_50
; %bb.47:                               ;   in Loop: Header=BB21_38 Depth=1
	s_mov_b32 s7, exec_lo
	v_cmpx_gt_f32_e32 v6, v10
; %bb.48:                               ;   in Loop: Header=BB21_38 Depth=1
	v_mov_b32_e32 v10, v6
; %bb.49:                               ;   in Loop: Header=BB21_38 Depth=1
	s_or_b32 exec_lo, exec_lo, s7
	s_delay_alu instid0(VALU_DEP_1)
	v_dual_mov_b32 v7, v10 :: v_dual_mov_b32 v6, v5
.LBB21_50:                              ;   in Loop: Header=BB21_38 Depth=1
	s_or_b32 exec_lo, exec_lo, s6
	scratch_load_b32 v5, v3, off offset:-16
	v_mov_b32_e32 v8, v6
	s_mov_b32 s6, exec_lo
	s_waitcnt vmcnt(0)
	v_cmpx_ngt_f32_e32 v5, v6
	s_cbranch_execz .LBB21_54
; %bb.51:                               ;   in Loop: Header=BB21_38 Depth=1
	s_mov_b32 s7, exec_lo
	v_cmpx_gt_f32_e32 v5, v7
; %bb.52:                               ;   in Loop: Header=BB21_38 Depth=1
	v_mov_b32_e32 v7, v5
; %bb.53:                               ;   in Loop: Header=BB21_38 Depth=1
	s_or_b32 exec_lo, exec_lo, s7
	s_delay_alu instid0(VALU_DEP_1)
	v_dual_mov_b32 v8, v7 :: v_dual_mov_b32 v5, v6
.LBB21_54:                              ;   in Loop: Header=BB21_38 Depth=1
	s_or_b32 exec_lo, exec_lo, s6
	scratch_load_b32 v6, v3, off offset:-12
	v_mov_b32_e32 v7, v5
	s_mov_b32 s6, exec_lo
	s_waitcnt vmcnt(0)
	v_cmpx_ngt_f32_e32 v6, v5
	s_cbranch_execz .LBB21_58
; %bb.55:                               ;   in Loop: Header=BB21_38 Depth=1
	s_mov_b32 s7, exec_lo
	v_cmpx_gt_f32_e32 v6, v8
; %bb.56:                               ;   in Loop: Header=BB21_38 Depth=1
	v_mov_b32_e32 v8, v6
; %bb.57:                               ;   in Loop: Header=BB21_38 Depth=1
	s_or_b32 exec_lo, exec_lo, s7
	s_delay_alu instid0(VALU_DEP_1)
	v_dual_mov_b32 v7, v8 :: v_dual_mov_b32 v6, v5
.LBB21_58:                              ;   in Loop: Header=BB21_38 Depth=1
	s_or_b32 exec_lo, exec_lo, s6
	scratch_load_b32 v5, v3, off offset:-8
	v_mov_b32_e32 v8, v6
	s_mov_b32 s6, exec_lo
	s_waitcnt vmcnt(0)
	v_cmpx_ngt_f32_e32 v5, v6
	s_cbranch_execz .LBB21_62
; %bb.59:                               ;   in Loop: Header=BB21_38 Depth=1
	s_mov_b32 s7, exec_lo
	v_cmpx_gt_f32_e32 v5, v7
; %bb.60:                               ;   in Loop: Header=BB21_38 Depth=1
	v_mov_b32_e32 v7, v5
; %bb.61:                               ;   in Loop: Header=BB21_38 Depth=1
	s_or_b32 exec_lo, exec_lo, s7
	s_delay_alu instid0(VALU_DEP_1)
	v_dual_mov_b32 v8, v7 :: v_dual_mov_b32 v5, v6
.LBB21_62:                              ;   in Loop: Header=BB21_38 Depth=1
	s_or_b32 exec_lo, exec_lo, s6
	scratch_load_b32 v7, v3, off offset:-4
	v_mov_b32_e32 v10, v5
	s_mov_b32 s6, exec_lo
	s_waitcnt vmcnt(0)
	v_cmpx_ngt_f32_e32 v7, v5
	s_cbranch_execz .LBB21_66
; %bb.63:                               ;   in Loop: Header=BB21_38 Depth=1
	s_mov_b32 s7, exec_lo
	v_cmpx_gt_f32_e32 v7, v8
; %bb.64:                               ;   in Loop: Header=BB21_38 Depth=1
	v_mov_b32_e32 v8, v7
; %bb.65:                               ;   in Loop: Header=BB21_38 Depth=1
	s_or_b32 exec_lo, exec_lo, s7
	s_delay_alu instid0(VALU_DEP_1)
	v_dual_mov_b32 v10, v8 :: v_dual_mov_b32 v7, v5
.LBB21_66:                              ;   in Loop: Header=BB21_38 Depth=1
	s_or_b32 exec_lo, exec_lo, s6
	scratch_load_b32 v5, v3, off
	v_mov_b32_e32 v6, v7
	s_mov_b32 s6, exec_lo
	s_waitcnt vmcnt(0)
	v_cmpx_ngt_f32_e32 v5, v7
	s_cbranch_execz .LBB21_37
; %bb.67:                               ;   in Loop: Header=BB21_38 Depth=1
	s_mov_b32 s7, exec_lo
	v_cmpx_gt_f32_e32 v5, v10
	s_cbranch_execz .LBB21_36
; %bb.68:                               ;   in Loop: Header=BB21_38 Depth=1
	v_mov_b32_e32 v10, v5
	s_branch .LBB21_36
.LBB21_69:
	v_mov_b32_e32 v5, 0xff7fffff
.LBB21_70:
	s_and_not1_b32 vcc_lo, exec_lo, s3
	s_cbranch_vccnz .LBB21_77
; %bb.71:
	s_lshl_b32 s3, s4, 2
	s_delay_alu instid0(SALU_CYCLE_1)
	v_add_nc_u32_e64 v3, 0x80, s3
	s_branch .LBB21_74
	.p2align	6
.LBB21_72:                              ;   in Loop: Header=BB21_74 Depth=1
	s_or_b32 exec_lo, exec_lo, s4
	s_delay_alu instid0(VALU_DEP_1)
	v_dual_mov_b32 v8, v6 :: v_dual_mov_b32 v7, v5
.LBB21_73:                              ;   in Loop: Header=BB21_74 Depth=1
	s_or_b32 exec_lo, exec_lo, s3
	s_delay_alu instid0(VALU_DEP_1) | instskip(NEXT) | instid1(VALU_DEP_2)
	v_dual_mov_b32 v6, v8 :: v_dual_add_nc_u32 v3, 4, v3
	v_mov_b32_e32 v5, v7
	s_add_i32 s2, s2, -1
	s_delay_alu instid0(SALU_CYCLE_1)
	s_cmp_lg_u32 s2, 0
	s_cbranch_scc0 .LBB21_77
.LBB21_74:                              ; =>This Inner Loop Header: Depth=1
	scratch_load_b32 v7, v3, off
	v_mov_b32_e32 v8, v5
	s_mov_b32 s3, exec_lo
	s_waitcnt vmcnt(0)
	v_cmpx_ngt_f32_e32 v7, v5
	s_cbranch_execz .LBB21_73
; %bb.75:                               ;   in Loop: Header=BB21_74 Depth=1
	s_mov_b32 s4, exec_lo
	v_cmpx_gt_f32_e32 v7, v6
	s_cbranch_execz .LBB21_72
; %bb.76:                               ;   in Loop: Header=BB21_74 Depth=1
	v_mov_b32_e32 v6, v7
	s_branch .LBB21_72
.LBB21_77:
	scratch_load_b32 v3, off, off offset:128
.LBB21_78:
	s_bfe_i64 s[2:3], s[28:29], 0x200000
	s_delay_alu instid0(SALU_CYCLE_1) | instskip(SKIP_1) | instid1(SALU_CYCLE_1)
	s_sub_u32 s4, s2, s30
	s_subb_u32 s5, s3, s31
	v_cmp_lt_i64_e64 s2, s[4:5], 1
	s_delay_alu instid0(VALU_DEP_1)
	s_and_b32 vcc_lo, exec_lo, s2
	s_cbranch_vccnz .LBB21_113
; %bb.79:
	s_abs_i32 s9, s8
	s_ashr_i32 s10, s8, 31
	v_cvt_f32_u32_e32 v7, s9
	s_sub_i32 s2, 0, s9
	s_mov_b64 s[6:7], 0
	s_mov_b32 s11, 0x76543210
	s_delay_alu instid0(VALU_DEP_1) | instskip(SKIP_2) | instid1(VALU_DEP_1)
	v_rcp_iflag_f32_e32 v7, v7
	s_waitcnt_depctr 0xfff
	v_mul_f32_e32 v7, 0x4f7ffffe, v7
	v_cvt_u32_f32_e32 v7, v7
	s_delay_alu instid0(VALU_DEP_1) | instskip(NEXT) | instid1(VALU_DEP_1)
	v_mul_lo_u32 v8, s2, v7
	v_mul_hi_u32 v8, v7, v8
	s_delay_alu instid0(VALU_DEP_1)
	v_dual_add_f32 v5, v6, v5 :: v_dual_add_nc_u32 v6, v7, v8
	s_branch .LBB21_82
.LBB21_80:                              ;   in Loop: Header=BB21_82 Depth=1
	s_or_b32 exec_lo, exec_lo, s2
.LBB21_81:                              ;   in Loop: Header=BB21_82 Depth=1
	s_delay_alu instid0(VALU_DEP_1) | instskip(SKIP_2) | instid1(SALU_CYCLE_1)
	v_sub_nc_u32_e32 v8, 0, v7
	s_add_u32 s6, s6, 1
	s_addc_u32 s7, s7, 0
	v_cmp_le_u64_e64 s2, s[4:5], s[6:7]
	s_delay_alu instid0(VALU_DEP_2) | instskip(SKIP_1) | instid1(VALU_DEP_2)
	v_max_i32_e32 v8, v7, v8
	v_ashrrev_i32_e32 v7, 31, v7
	v_mul_hi_u32 v10, v8, v6
	s_delay_alu instid0(VALU_DEP_2) | instskip(NEXT) | instid1(VALU_DEP_2)
	v_xor_b32_e32 v7, s10, v7
	v_mul_lo_u32 v11, v10, s9
	s_delay_alu instid0(VALU_DEP_1) | instskip(NEXT) | instid1(VALU_DEP_1)
	v_sub_nc_u32_e32 v8, v8, v11
	v_subrev_nc_u32_e32 v12, s9, v8
	v_cmp_le_u32_e32 vcc_lo, s9, v8
	s_delay_alu instid0(VALU_DEP_2) | instskip(NEXT) | instid1(VALU_DEP_1)
	v_dual_cndmask_b32 v8, v8, v12 :: v_dual_add_nc_u32 v11, 1, v10
	v_cndmask_b32_e32 v10, v10, v11, vcc_lo
	s_delay_alu instid0(VALU_DEP_2) | instskip(NEXT) | instid1(VALU_DEP_2)
	v_cmp_le_u32_e32 vcc_lo, s9, v8
	v_add_nc_u32_e32 v11, 1, v10
	s_delay_alu instid0(VALU_DEP_1) | instskip(NEXT) | instid1(VALU_DEP_1)
	v_cndmask_b32_e32 v8, v10, v11, vcc_lo
	v_xor_b32_e32 v8, v8, v7
	s_delay_alu instid0(VALU_DEP_1) | instskip(NEXT) | instid1(VALU_DEP_1)
	v_sub_nc_u32_e32 v7, v8, v7
	v_cmp_eq_u32_e32 vcc_lo, v9, v7
	s_waitcnt vmcnt(0)
	v_cndmask_b32_e64 v3, v3, 0x7f7fffff, vcc_lo
	v_cndmask_b32_e64 v5, v5, 0x7f7fffff, vcc_lo
	s_and_b32 vcc_lo, exec_lo, s2
	s_cbranch_vccnz .LBB21_113
.LBB21_82:                              ; =>This Inner Loop Header: Depth=1
	s_cmp_lt_i32 s28, 8
	s_cbranch_scc1 .LBB21_90
; %bb.83:                               ;   in Loop: Header=BB21_82 Depth=1
	s_cmp_lt_i32 s28, 16
	s_cbranch_scc1 .LBB21_91
; %bb.84:                               ;   in Loop: Header=BB21_82 Depth=1
	;; [unrolled: 3-line block ×3, first 2 shown]
	v_mov_b32_e32 v7, v2
	s_cmp_eq_u32 s28, 32
	s_cbranch_scc0 .LBB21_89
; %bb.86:                               ;   in Loop: Header=BB21_82 Depth=1
	s_delay_alu instid0(VALU_DEP_1) | instskip(SKIP_1) | instid1(VALU_DEP_2)
	v_mov_b32_dpp v7, v5 quad_perm:[1,0,3,2] row_mask:0xf bank_mask:0xf
	v_mov_b32_dpp v8, v2 quad_perm:[1,0,3,2] row_mask:0xf bank_mask:0xf
	v_cmp_eq_f32_e32 vcc_lo, v5, v7
	s_delay_alu instid0(VALU_DEP_2) | instskip(SKIP_1) | instid1(VALU_DEP_2)
	v_cmp_lt_i32_e64 s2, v2, v8
	v_cmp_lt_f32_e64 s3, v5, v7
	s_and_b32 s2, vcc_lo, s2
	s_delay_alu instid0(VALU_DEP_1) | instid1(SALU_CYCLE_1)
	s_or_b32 vcc_lo, s3, s2
	v_dual_cndmask_b32 v7, v7, v5 :: v_dual_cndmask_b32 v8, v8, v2
	s_delay_alu instid0(VALU_DEP_1) | instskip(NEXT) | instid1(VALU_DEP_2)
	v_mov_b32_dpp v10, v7 quad_perm:[2,3,0,1] row_mask:0xf bank_mask:0xf
	v_mov_b32_dpp v11, v8 quad_perm:[2,3,0,1] row_mask:0xf bank_mask:0xf
	s_delay_alu instid0(VALU_DEP_2) | instskip(NEXT) | instid1(VALU_DEP_2)
	v_cmp_eq_f32_e32 vcc_lo, v7, v10
	v_cmp_lt_i32_e64 s2, v8, v11
	s_delay_alu instid0(VALU_DEP_1) | instskip(SKIP_2) | instid1(VALU_DEP_2)
	s_and_b32 vcc_lo, vcc_lo, s2
	v_cmp_lt_f32_e64 s2, v7, v10
	v_cndmask_b32_e32 v12, v10, v7, vcc_lo
	s_or_b32 vcc_lo, s2, vcc_lo
	s_delay_alu instid0(VALU_DEP_1) | instskip(SKIP_1) | instid1(VALU_DEP_2)
	v_cndmask_b32_e64 v7, v12, v7, s2
	v_cndmask_b32_e32 v8, v11, v8, vcc_lo
	v_mov_b32_dpp v10, v7 row_xmask:7 row_mask:0xf bank_mask:0xf
	s_delay_alu instid0(VALU_DEP_2) | instskip(NEXT) | instid1(VALU_DEP_2)
	v_mov_b32_dpp v11, v8 row_xmask:7 row_mask:0xf bank_mask:0xf
	v_cmp_eq_f32_e32 vcc_lo, v7, v10
	s_delay_alu instid0(VALU_DEP_2) | instskip(NEXT) | instid1(VALU_DEP_1)
	v_cmp_lt_i32_e64 s2, v8, v11
	s_and_b32 vcc_lo, vcc_lo, s2
	v_cmp_lt_f32_e64 s2, v7, v10
	v_cndmask_b32_e32 v12, v10, v7, vcc_lo
	s_delay_alu instid0(VALU_DEP_2) | instskip(NEXT) | instid1(VALU_DEP_1)
	s_or_b32 vcc_lo, s2, vcc_lo
	v_cndmask_b32_e64 v7, v12, v7, s2
	v_cndmask_b32_e32 v11, v11, v8, vcc_lo
	s_delay_alu instid0(VALU_DEP_2) | instskip(NEXT) | instid1(VALU_DEP_2)
	v_mov_b32_dpp v8, v7 row_xmask:15 row_mask:0xf bank_mask:0xf
	v_mov_b32_dpp v12, v11 row_xmask:15 row_mask:0xf bank_mask:0xf
	s_delay_alu instid0(VALU_DEP_2) | instskip(NEXT) | instid1(VALU_DEP_2)
	v_cmp_eq_f32_e32 vcc_lo, v7, v8
	v_cmp_lt_i32_e64 s2, v11, v12
	s_delay_alu instid0(VALU_DEP_1) | instskip(SKIP_2) | instid1(VALU_DEP_2)
	s_and_b32 vcc_lo, vcc_lo, s2
	v_cmp_lt_f32_e64 s2, v7, v8
	v_cndmask_b32_e32 v10, v8, v7, vcc_lo
	s_or_b32 vcc_lo, s2, vcc_lo
	s_delay_alu instid0(VALU_DEP_1) | instskip(SKIP_2) | instid1(VALU_DEP_2)
	v_cndmask_b32_e64 v8, v10, v7, s2
	v_cndmask_b32_e32 v7, v12, v11, vcc_lo
	s_mov_b32 s2, exec_lo
	v_permlanex16_b32 v10, v8, s11, 0xfedcba98 op_sel:[1,1]
	s_delay_alu instid0(VALU_DEP_1)
	v_cmpx_nlt_f32_e32 v8, v10
; %bb.87:                               ;   in Loop: Header=BB21_82 Depth=1
	s_delay_alu instid0(VALU_DEP_3) | instskip(NEXT) | instid1(VALU_DEP_1)
	v_mov_b32_e32 v7, v7
	v_permlanex16_b32 v11, v7, s11, 0xfedcba98 op_sel:[1,1]
	v_cmp_eq_f32_e32 vcc_lo, v8, v10
	s_delay_alu instid0(VALU_DEP_2) | instskip(NEXT) | instid1(VALU_DEP_1)
	v_min_i32_e32 v7, v7, v11
	v_cndmask_b32_e32 v7, v11, v7, vcc_lo
; %bb.88:                               ;   in Loop: Header=BB21_82 Depth=1
	s_or_b32 exec_lo, exec_lo, s2
.LBB21_89:                              ;   in Loop: Header=BB21_82 Depth=1
	s_cbranch_execz .LBB21_93
	s_branch .LBB21_97
.LBB21_90:                              ;   in Loop: Header=BB21_82 Depth=1
                                        ; implicit-def: $vgpr7
	s_branch .LBB21_103
.LBB21_91:                              ;   in Loop: Header=BB21_82 Depth=1
                                        ; implicit-def: $vgpr7
	s_branch .LBB21_98
.LBB21_92:                              ;   in Loop: Header=BB21_82 Depth=1
                                        ; implicit-def: $vgpr7
.LBB21_93:                              ;   in Loop: Header=BB21_82 Depth=1
	v_mov_b32_e32 v7, v2
	s_cmp_eq_u32 s28, 16
	s_cbranch_scc0 .LBB21_97
; %bb.94:                               ;   in Loop: Header=BB21_82 Depth=1
	s_delay_alu instid0(VALU_DEP_1) | instskip(SKIP_1) | instid1(VALU_DEP_2)
	v_mov_b32_dpp v7, v5 quad_perm:[1,0,3,2] row_mask:0xf bank_mask:0xf
	v_mov_b32_dpp v8, v2 quad_perm:[1,0,3,2] row_mask:0xf bank_mask:0xf
	v_cmp_eq_f32_e32 vcc_lo, v5, v7
	s_delay_alu instid0(VALU_DEP_2) | instskip(SKIP_1) | instid1(VALU_DEP_2)
	v_cmp_lt_i32_e64 s2, v2, v8
	v_cmp_lt_f32_e64 s3, v5, v7
	s_and_b32 s2, vcc_lo, s2
	s_delay_alu instid0(VALU_DEP_1) | instid1(SALU_CYCLE_1)
	s_or_b32 vcc_lo, s3, s2
	v_dual_cndmask_b32 v7, v7, v5 :: v_dual_cndmask_b32 v8, v8, v2
	s_delay_alu instid0(VALU_DEP_1) | instskip(NEXT) | instid1(VALU_DEP_2)
	v_mov_b32_dpp v10, v7 quad_perm:[2,3,0,1] row_mask:0xf bank_mask:0xf
	v_mov_b32_dpp v11, v8 quad_perm:[2,3,0,1] row_mask:0xf bank_mask:0xf
	s_delay_alu instid0(VALU_DEP_2) | instskip(NEXT) | instid1(VALU_DEP_2)
	v_cmp_eq_f32_e32 vcc_lo, v7, v10
	v_cmp_lt_i32_e64 s2, v8, v11
	s_delay_alu instid0(VALU_DEP_1) | instskip(SKIP_2) | instid1(VALU_DEP_2)
	s_and_b32 vcc_lo, vcc_lo, s2
	v_cmp_lt_f32_e64 s2, v7, v10
	v_cndmask_b32_e32 v12, v10, v7, vcc_lo
	s_or_b32 vcc_lo, s2, vcc_lo
	s_delay_alu instid0(VALU_DEP_1) | instskip(SKIP_1) | instid1(VALU_DEP_2)
	v_cndmask_b32_e64 v7, v12, v7, s2
	v_cndmask_b32_e32 v10, v11, v8, vcc_lo
	v_mov_b32_dpp v8, v7 row_half_mirror row_mask:0xf bank_mask:0xf
	s_delay_alu instid0(VALU_DEP_2) | instskip(NEXT) | instid1(VALU_DEP_2)
	v_mov_b32_dpp v11, v10 row_half_mirror row_mask:0xf bank_mask:0xf
	v_cmp_eq_f32_e32 vcc_lo, v7, v8
	s_delay_alu instid0(VALU_DEP_2) | instskip(NEXT) | instid1(VALU_DEP_1)
	v_cmp_lt_i32_e64 s2, v10, v11
	s_and_b32 vcc_lo, vcc_lo, s2
	v_cmp_lt_f32_e64 s2, v7, v8
	v_cndmask_b32_e32 v12, v8, v7, vcc_lo
	s_delay_alu instid0(VALU_DEP_2) | instskip(NEXT) | instid1(VALU_DEP_1)
	s_or_b32 vcc_lo, s2, vcc_lo
	v_cndmask_b32_e64 v8, v12, v7, s2
	v_cndmask_b32_e32 v7, v11, v10, vcc_lo
	s_mov_b32 s2, exec_lo
	s_delay_alu instid0(VALU_DEP_2) | instskip(NEXT) | instid1(VALU_DEP_2)
	v_mov_b32_dpp v11, v8 row_mirror row_mask:0xf bank_mask:0xf
	v_mov_b32_dpp v10, v7 row_mirror row_mask:0xf bank_mask:0xf
	s_delay_alu instid0(VALU_DEP_2)
	v_cmpx_nlt_f32_e32 v8, v11
; %bb.95:                               ;   in Loop: Header=BB21_82 Depth=1
	s_delay_alu instid0(VALU_DEP_2) | instskip(SKIP_1) | instid1(VALU_DEP_2)
	v_min_i32_e32 v7, v7, v10
	v_cmp_eq_f32_e32 vcc_lo, v8, v11
	v_cndmask_b32_e32 v7, v10, v7, vcc_lo
; %bb.96:                               ;   in Loop: Header=BB21_82 Depth=1
	s_or_b32 exec_lo, exec_lo, s2
.LBB21_97:                              ;   in Loop: Header=BB21_82 Depth=1
	s_cbranch_execnz .LBB21_102
.LBB21_98:                              ;   in Loop: Header=BB21_82 Depth=1
	v_mov_b32_e32 v7, v2
	s_cmp_eq_u32 s28, 8
	s_cbranch_scc0 .LBB21_102
; %bb.99:                               ;   in Loop: Header=BB21_82 Depth=1
	s_delay_alu instid0(VALU_DEP_1) | instskip(SKIP_1) | instid1(VALU_DEP_2)
	v_mov_b32_dpp v7, v5 quad_perm:[1,0,3,2] row_mask:0xf bank_mask:0xf
	v_mov_b32_dpp v8, v2 quad_perm:[1,0,3,2] row_mask:0xf bank_mask:0xf
	v_cmp_eq_f32_e32 vcc_lo, v5, v7
	s_delay_alu instid0(VALU_DEP_2) | instskip(SKIP_1) | instid1(VALU_DEP_2)
	v_cmp_lt_i32_e64 s2, v2, v8
	v_cmp_lt_f32_e64 s3, v5, v7
	s_and_b32 s2, vcc_lo, s2
	s_delay_alu instid0(VALU_DEP_1) | instid1(SALU_CYCLE_1)
	s_or_b32 vcc_lo, s3, s2
	v_dual_cndmask_b32 v7, v7, v5 :: v_dual_cndmask_b32 v10, v8, v2
	s_delay_alu instid0(VALU_DEP_1) | instskip(NEXT) | instid1(VALU_DEP_2)
	v_mov_b32_dpp v8, v7 quad_perm:[2,3,0,1] row_mask:0xf bank_mask:0xf
	v_mov_b32_dpp v11, v10 quad_perm:[2,3,0,1] row_mask:0xf bank_mask:0xf
	s_delay_alu instid0(VALU_DEP_2) | instskip(NEXT) | instid1(VALU_DEP_2)
	v_cmp_eq_f32_e32 vcc_lo, v7, v8
	v_cmp_lt_i32_e64 s2, v10, v11
	s_delay_alu instid0(VALU_DEP_1) | instskip(SKIP_2) | instid1(VALU_DEP_2)
	s_and_b32 vcc_lo, vcc_lo, s2
	v_cmp_lt_f32_e64 s2, v7, v8
	v_cndmask_b32_e32 v12, v8, v7, vcc_lo
	s_or_b32 vcc_lo, s2, vcc_lo
	s_delay_alu instid0(VALU_DEP_1) | instskip(SKIP_2) | instid1(VALU_DEP_2)
	v_cndmask_b32_e64 v8, v12, v7, s2
	v_cndmask_b32_e32 v7, v11, v10, vcc_lo
	s_mov_b32 s2, exec_lo
	v_mov_b32_dpp v11, v8 row_half_mirror row_mask:0xf bank_mask:0xf
	s_delay_alu instid0(VALU_DEP_2) | instskip(NEXT) | instid1(VALU_DEP_2)
	v_mov_b32_dpp v10, v7 row_half_mirror row_mask:0xf bank_mask:0xf
	v_cmpx_nlt_f32_e32 v8, v11
; %bb.100:                              ;   in Loop: Header=BB21_82 Depth=1
	s_delay_alu instid0(VALU_DEP_2) | instskip(SKIP_1) | instid1(VALU_DEP_2)
	v_min_i32_e32 v7, v7, v10
	v_cmp_eq_f32_e32 vcc_lo, v8, v11
	v_cndmask_b32_e32 v7, v10, v7, vcc_lo
; %bb.101:                              ;   in Loop: Header=BB21_82 Depth=1
	s_or_b32 exec_lo, exec_lo, s2
.LBB21_102:                             ;   in Loop: Header=BB21_82 Depth=1
	s_cbranch_execnz .LBB21_81
.LBB21_103:                             ;   in Loop: Header=BB21_82 Depth=1
	s_cmp_lt_i32 s28, 4
	s_cbranch_scc1 .LBB21_109
; %bb.104:                              ;   in Loop: Header=BB21_82 Depth=1
	v_mov_b32_e32 v7, v2
	s_cmp_eq_u32 s28, 4
	s_cbranch_scc0 .LBB21_108
; %bb.105:                              ;   in Loop: Header=BB21_82 Depth=1
	s_delay_alu instid0(VALU_DEP_1) | instskip(SKIP_1) | instid1(VALU_DEP_2)
	v_mov_b32_dpp v7, v5 quad_perm:[1,0,3,2] row_mask:0xf bank_mask:0xf
	v_mov_b32_dpp v10, v2 quad_perm:[1,0,3,2] row_mask:0xf bank_mask:0xf
	v_cmp_eq_f32_e32 vcc_lo, v5, v7
	s_delay_alu instid0(VALU_DEP_2) | instskip(SKIP_1) | instid1(VALU_DEP_2)
	v_cmp_lt_i32_e64 s2, v2, v10
	v_cmp_lt_f32_e64 s3, v5, v7
	s_and_b32 s2, vcc_lo, s2
	s_delay_alu instid0(VALU_DEP_1) | instid1(SALU_CYCLE_1)
	s_or_b32 vcc_lo, s3, s2
	s_mov_b32 s2, exec_lo
	v_dual_cndmask_b32 v8, v7, v5 :: v_dual_cndmask_b32 v7, v10, v2
	s_delay_alu instid0(VALU_DEP_1) | instskip(NEXT) | instid1(VALU_DEP_2)
	v_mov_b32_dpp v11, v8 quad_perm:[2,3,0,1] row_mask:0xf bank_mask:0xf
	v_mov_b32_dpp v10, v7 quad_perm:[2,3,0,1] row_mask:0xf bank_mask:0xf
	s_delay_alu instid0(VALU_DEP_2)
	v_cmpx_nlt_f32_e32 v8, v11
; %bb.106:                              ;   in Loop: Header=BB21_82 Depth=1
	s_delay_alu instid0(VALU_DEP_2) | instskip(SKIP_1) | instid1(VALU_DEP_2)
	v_min_i32_e32 v7, v7, v10
	v_cmp_eq_f32_e32 vcc_lo, v8, v11
	v_cndmask_b32_e32 v7, v10, v7, vcc_lo
; %bb.107:                              ;   in Loop: Header=BB21_82 Depth=1
	s_or_b32 exec_lo, exec_lo, s2
.LBB21_108:                             ;   in Loop: Header=BB21_82 Depth=1
	s_cbranch_execnz .LBB21_81
	s_branch .LBB21_110
.LBB21_109:                             ;   in Loop: Header=BB21_82 Depth=1
                                        ; implicit-def: $vgpr7
.LBB21_110:                             ;   in Loop: Header=BB21_82 Depth=1
	v_mov_b32_e32 v7, v2
	s_cmp_lg_u32 s28, 2
	s_cbranch_scc1 .LBB21_81
; %bb.111:                              ;   in Loop: Header=BB21_82 Depth=1
	v_mov_b32_dpp v10, v5 quad_perm:[1,0,3,2] row_mask:0xf bank_mask:0xf
	v_mov_b32_dpp v8, v2 quad_perm:[1,0,3,2] row_mask:0xf bank_mask:0xf
	v_mov_b32_e32 v7, v2
	s_mov_b32 s2, exec_lo
	s_delay_alu instid0(VALU_DEP_3)
	v_cmpx_nlt_f32_e32 v5, v10
	s_cbranch_execz .LBB21_80
; %bb.112:                              ;   in Loop: Header=BB21_82 Depth=1
	v_min_i32_e32 v7, v2, v8
	v_cmp_eq_f32_e32 vcc_lo, v5, v10
	s_delay_alu instid0(VALU_DEP_2)
	v_cndmask_b32_e32 v7, v8, v7, vcc_lo
	s_branch .LBB21_80
.LBB21_113:
	s_clause 0x2
	s_load_b128 s[4:7], s[0:1], 0x40
	s_load_b64 s[10:11], s[0:1], 0x50
	s_load_b32 s15, s[0:1], 0x58
	s_cmp_lg_u32 0, -1
	s_mov_b64 s[0:1], src_shared_base
	s_cselect_b32 s0, 0, 0
	v_ashrrev_i32_e32 v7, 31, v4
	s_cselect_b32 s1, s1, 0
	s_add_u32 s0, s0, 0xff
	s_addc_u32 s1, s1, 0
	s_and_b32 s0, s0, 0xffffff00
	s_waitcnt vmcnt(0)
	scratch_store_b32 off, v3, off offset:128
	s_waitcnt lgkmcnt(0)
	v_alignbit_b32 v8, s5, s4, 30
	s_lshl_b32 s2, s4, 2
	s_sub_u32 s12, s4, s6
	v_mad_u64_u32 v[5:6], null, s2, v4, s[0:1]
	v_mul_lo_u32 v7, s2, v7
	s_subb_u32 s13, s5, s7
	v_mul_lo_u32 v4, v8, v4
	v_cmp_lt_i64_e64 s0, s[12:13], 1
	s_delay_alu instid0(VALU_DEP_1) | instskip(NEXT) | instid1(VALU_DEP_2)
	s_and_b32 vcc_lo, exec_lo, s0
	v_add3_u32 v8, v4, v6, v7
	v_cmp_eq_u32_e64 s0, 0, v9
	s_cbranch_vccnz .LBB21_188
; %bb.114:
	s_cmp_lt_i32 s8, 2
	s_mov_b32 s33, 0x76543210
	s_cselect_b32 s3, -1, 0
	s_add_i32 s2, s8, -1
	s_add_i32 s9, s8, -2
	s_ashr_i32 s1, s15, 31
	s_and_b32 s16, s2, 7
	s_cmp_gt_u32 s9, 6
	s_cselect_b32 s17, -1, 0
	s_and_b32 s18, s2, -8
	s_cmp_lg_u32 s16, 0
	s_cselect_b32 s19, -1, 0
	s_and_b32 s24, s8, 7
	s_cmp_gt_u32 s8, 7
	s_cselect_b32 s25, -1, 0
	s_and_b32 s27, s8, 0x7ffffff8
	s_cmp_lg_u32 s24, 0
	s_cselect_b32 s29, -1, 0
	s_abs_i32 s30, s8
	s_ashr_i32 s31, s8, 31
	v_cvt_f32_u32_e32 v3, s30
	s_mov_b64 s[8:9], 0
	s_delay_alu instid0(VALU_DEP_1)
	v_rcp_iflag_f32_e32 v6, v3
	v_mad_u64_u32 v[3:4], null, v0, s15, 0
	s_waitcnt_depctr 0xfff
	v_mul_f32_e32 v10, 0x4f7ffffe, v6
	v_mad_u64_u32 v[6:7], null, v0, s1, v[4:5]
	s_sub_i32 s1, 0, s30
	s_delay_alu instid0(VALU_DEP_2) | instskip(SKIP_1) | instid1(VALU_DEP_3)
	v_cvt_u32_f32_e32 v12, v10
	v_mov_b32_e32 v10, 0
	v_mov_b32_e32 v4, v6
	s_delay_alu instid0(VALU_DEP_3) | instskip(SKIP_1) | instid1(VALU_DEP_2)
	v_mul_lo_u32 v7, s1, v12
	v_add_nc_u32_e64 v6, 0x80, 32
	v_mul_hi_u32 v13, v12, v7
	s_delay_alu instid0(VALU_DEP_1) | instskip(SKIP_1) | instid1(VALU_DEP_1)
	v_dual_mov_b32 v13, 0xff7fffff :: v_dual_add_nc_u32 v12, v12, v13
	v_lshlrev_b64 v[3:4], 2, v[3:4]
	v_add_co_u32 v7, vcc_lo, s22, v3
	s_delay_alu instid0(VALU_DEP_2)
	v_add_co_ci_u32_e32 v11, vcc_lo, s23, v4, vcc_lo
	s_branch .LBB21_116
.LBB21_115:                             ;   in Loop: Header=BB21_116 Depth=1
	s_or_b32 exec_lo, exec_lo, s1
	s_add_u32 s8, s8, 1
	s_addc_u32 s9, s9, 0
	s_delay_alu instid0(SALU_CYCLE_1) | instskip(NEXT) | instid1(VALU_DEP_1)
	v_cmp_le_i64_e64 s1, s[12:13], s[8:9]
	s_and_b32 vcc_lo, exec_lo, s1
	s_cbranch_vccnz .LBB21_189
.LBB21_116:                             ; =>This Loop Header: Depth=1
                                        ;     Child Loop BB21_119 Depth 2
                                        ;     Child Loop BB21_123 Depth 2
	;; [unrolled: 1-line block ×4, first 2 shown]
	scratch_load_b32 v14, off, off offset:128
	v_mov_b32_e32 v3, v2
	s_waitcnt vmcnt(0)
	v_cmp_eq_f32_e32 vcc_lo, 0x7f7fffff, v14
	v_cndmask_b32_e64 v4, v14, 0xff7fffff, vcc_lo
	s_or_b32 s1, s3, vcc_lo
	s_delay_alu instid0(SALU_CYCLE_1) | instskip(NEXT) | instid1(SALU_CYCLE_1)
	s_xor_b32 s2, s1, -1
	s_and_saveexec_b32 s1, s2
	s_cbranch_execz .LBB21_125
; %bb.117:                              ;   in Loop: Header=BB21_116 Depth=1
	s_and_not1_b32 vcc_lo, exec_lo, s17
	s_mov_b32 s2, 1
	s_cbranch_vccnz .LBB21_121
; %bb.118:                              ;   in Loop: Header=BB21_116 Depth=1
	v_mov_b32_e32 v4, v6
	v_mov_b32_e32 v3, v2
	s_mov_b32 s34, 0
	s_set_inst_prefetch_distance 0x1
	.p2align	6
.LBB21_119:                             ;   Parent Loop BB21_116 Depth=1
                                        ; =>  This Inner Loop Header: Depth=2
	s_clause 0x1
	scratch_load_b128 v[15:18], v4, off offset:-28
	scratch_load_b128 v[19:22], v4, off offset:-12
	s_mov_b32 s2, s34
	s_add_i32 s34, s34, 8
	s_delay_alu instid0(SALU_CYCLE_1) | instskip(SKIP_3) | instid1(VALU_DEP_1)
	s_cmp_lg_u32 s18, s34
	s_waitcnt vmcnt(1)
	v_cmp_gt_f32_e32 vcc_lo, v15, v14
	v_dual_cndmask_b32 v14, v14, v15 :: v_dual_add_nc_u32 v23, s2, v2
	v_add_nc_u32_e32 v25, 2, v23
	v_add_nc_u32_e32 v24, 1, v23
	s_delay_alu instid0(VALU_DEP_1) | instskip(NEXT) | instid1(VALU_DEP_4)
	v_dual_cndmask_b32 v3, v3, v24 :: v_dual_add_nc_u32 v26, 3, v23
	v_cmp_gt_f32_e32 vcc_lo, v16, v14
	s_delay_alu instid0(VALU_DEP_2) | instskip(SKIP_1) | instid1(VALU_DEP_2)
	v_dual_cndmask_b32 v14, v14, v16 :: v_dual_cndmask_b32 v3, v3, v25
	v_add_nc_u32_e32 v16, 7, v23
	v_cmp_gt_f32_e32 vcc_lo, v17, v14
	v_add_nc_u32_e32 v27, 4, v23
	s_delay_alu instid0(VALU_DEP_4) | instskip(SKIP_1) | instid1(VALU_DEP_1)
	v_dual_cndmask_b32 v3, v3, v26 :: v_dual_add_nc_u32 v28, 5, v23
	v_cndmask_b32_e32 v14, v14, v17, vcc_lo
	v_cmp_gt_f32_e32 vcc_lo, v18, v14
	s_delay_alu instid0(VALU_DEP_3) | instskip(SKIP_1) | instid1(VALU_DEP_1)
	v_dual_cndmask_b32 v14, v14, v18 :: v_dual_cndmask_b32 v3, v3, v27
	s_waitcnt vmcnt(0)
	v_cmp_gt_f32_e32 vcc_lo, v19, v14
	s_delay_alu instid0(VALU_DEP_2) | instskip(NEXT) | instid1(VALU_DEP_1)
	v_dual_cndmask_b32 v14, v14, v19 :: v_dual_cndmask_b32 v3, v3, v28
	v_cmp_gt_f32_e32 vcc_lo, v20, v14
	v_dual_cndmask_b32 v14, v14, v20 :: v_dual_add_nc_u32 v15, 6, v23
	s_delay_alu instid0(VALU_DEP_1) | instskip(NEXT) | instid1(VALU_DEP_2)
	v_cndmask_b32_e32 v3, v3, v15, vcc_lo
	v_cmp_gt_f32_e32 vcc_lo, v21, v14
	s_delay_alu instid0(VALU_DEP_2) | instskip(NEXT) | instid1(VALU_DEP_1)
	v_dual_cndmask_b32 v14, v14, v21 :: v_dual_cndmask_b32 v3, v3, v16
	v_cmp_gt_f32_e32 vcc_lo, v22, v14
	v_dual_cndmask_b32 v14, v14, v22 :: v_dual_add_nc_u32 v15, 8, v23
	s_delay_alu instid0(VALU_DEP_1)
	v_dual_cndmask_b32 v3, v3, v15 :: v_dual_add_nc_u32 v4, 32, v4
	s_cbranch_scc1 .LBB21_119
; %bb.120:                              ;   in Loop: Header=BB21_116 Depth=1
	s_set_inst_prefetch_distance 0x2
	s_add_i32 s2, s2, 9
	s_and_not1_b32 vcc_lo, exec_lo, s19
	s_cbranch_vccz .LBB21_122
	s_branch .LBB21_124
.LBB21_121:                             ;   in Loop: Header=BB21_116 Depth=1
	v_mov_b32_e32 v3, v2
	s_and_not1_b32 vcc_lo, exec_lo, s19
	s_cbranch_vccnz .LBB21_124
.LBB21_122:                             ;   in Loop: Header=BB21_116 Depth=1
	s_lshl_b32 s34, s2, 2
	v_add_nc_u32_e32 v4, s2, v2
	v_add_nc_u32_e64 v15, 0x80, s34
	s_mov_b32 s2, s16
.LBB21_123:                             ;   Parent Loop BB21_116 Depth=1
                                        ; =>  This Inner Loop Header: Depth=2
	scratch_load_b32 v16, v15, off
	s_add_i32 s2, s2, -1
	s_delay_alu instid0(SALU_CYCLE_1)
	s_cmp_lg_u32 s2, 0
	s_waitcnt vmcnt(0)
	v_cmp_gt_f32_e32 vcc_lo, v16, v14
	v_dual_cndmask_b32 v14, v14, v16 :: v_dual_add_nc_u32 v15, 4, v15
	v_cndmask_b32_e32 v3, v3, v4, vcc_lo
	v_add_nc_u32_e32 v4, 1, v4
	s_cbranch_scc1 .LBB21_123
.LBB21_124:                             ;   in Loop: Header=BB21_116 Depth=1
	s_delay_alu instid0(VALU_DEP_3)
	v_mov_b32_e32 v4, v14
.LBB21_125:                             ;   in Loop: Header=BB21_116 Depth=1
	s_or_b32 exec_lo, exec_lo, s1
	s_cmp_lt_i32 s28, 8
	s_cbranch_scc1 .LBB21_133
; %bb.126:                              ;   in Loop: Header=BB21_116 Depth=1
	s_cmp_lt_i32 s28, 16
	s_cbranch_scc1 .LBB21_134
; %bb.127:                              ;   in Loop: Header=BB21_116 Depth=1
	;; [unrolled: 3-line block ×3, first 2 shown]
	v_mov_b32_e32 v14, v3
	s_cmp_eq_u32 s28, 32
	s_cbranch_scc0 .LBB21_132
; %bb.129:                              ;   in Loop: Header=BB21_116 Depth=1
	s_delay_alu instid0(VALU_DEP_1) | instskip(SKIP_1) | instid1(VALU_DEP_2)
	v_mov_b32_dpp v14, v4 quad_perm:[1,0,3,2] row_mask:0xf bank_mask:0xf
	v_mov_b32_dpp v15, v3 quad_perm:[1,0,3,2] row_mask:0xf bank_mask:0xf
	v_cmp_eq_f32_e32 vcc_lo, v4, v14
	s_delay_alu instid0(VALU_DEP_2) | instskip(SKIP_1) | instid1(VALU_DEP_2)
	v_cmp_lt_i32_e64 s1, v3, v15
	v_cmp_gt_f32_e64 s2, v4, v14
	s_and_b32 s1, vcc_lo, s1
	s_delay_alu instid0(VALU_DEP_1) | instid1(SALU_CYCLE_1)
	s_or_b32 vcc_lo, s2, s1
	v_dual_cndmask_b32 v14, v14, v4 :: v_dual_cndmask_b32 v15, v15, v3
	s_delay_alu instid0(VALU_DEP_1) | instskip(NEXT) | instid1(VALU_DEP_2)
	v_mov_b32_dpp v16, v14 quad_perm:[2,3,0,1] row_mask:0xf bank_mask:0xf
	v_mov_b32_dpp v17, v15 quad_perm:[2,3,0,1] row_mask:0xf bank_mask:0xf
	s_delay_alu instid0(VALU_DEP_2) | instskip(NEXT) | instid1(VALU_DEP_2)
	v_cmp_eq_f32_e32 vcc_lo, v14, v16
	v_cmp_lt_i32_e64 s1, v15, v17
	s_delay_alu instid0(VALU_DEP_1) | instskip(SKIP_2) | instid1(VALU_DEP_2)
	s_and_b32 vcc_lo, vcc_lo, s1
	v_cmp_gt_f32_e64 s1, v14, v16
	v_cndmask_b32_e32 v18, v16, v14, vcc_lo
	s_or_b32 vcc_lo, s1, vcc_lo
	v_cndmask_b32_e32 v15, v17, v15, vcc_lo
	s_delay_alu instid0(VALU_DEP_2) | instskip(NEXT) | instid1(VALU_DEP_2)
	v_cndmask_b32_e64 v14, v18, v14, s1
	v_mov_b32_dpp v17, v15 row_xmask:7 row_mask:0xf bank_mask:0xf
	s_delay_alu instid0(VALU_DEP_2) | instskip(NEXT) | instid1(VALU_DEP_2)
	v_mov_b32_dpp v16, v14 row_xmask:7 row_mask:0xf bank_mask:0xf
	v_cmp_lt_i32_e64 s1, v15, v17
	s_delay_alu instid0(VALU_DEP_2) | instskip(NEXT) | instid1(VALU_DEP_2)
	v_cmp_eq_f32_e32 vcc_lo, v14, v16
	s_and_b32 vcc_lo, vcc_lo, s1
	v_cmp_gt_f32_e64 s1, v14, v16
	v_cndmask_b32_e32 v18, v16, v14, vcc_lo
	s_delay_alu instid0(VALU_DEP_2) | instskip(SKIP_1) | instid1(VALU_DEP_2)
	s_or_b32 vcc_lo, s1, vcc_lo
	v_cndmask_b32_e32 v17, v17, v15, vcc_lo
	v_cndmask_b32_e64 v14, v18, v14, s1
	s_delay_alu instid0(VALU_DEP_2) | instskip(NEXT) | instid1(VALU_DEP_2)
	v_mov_b32_dpp v18, v17 row_xmask:15 row_mask:0xf bank_mask:0xf
	v_mov_b32_dpp v15, v14 row_xmask:15 row_mask:0xf bank_mask:0xf
	s_delay_alu instid0(VALU_DEP_2) | instskip(NEXT) | instid1(VALU_DEP_2)
	v_cmp_lt_i32_e64 s1, v17, v18
	v_cmp_eq_f32_e32 vcc_lo, v14, v15
	s_delay_alu instid0(VALU_DEP_2) | instskip(SKIP_2) | instid1(VALU_DEP_2)
	s_and_b32 vcc_lo, vcc_lo, s1
	v_cmp_gt_f32_e64 s1, v14, v15
	v_cndmask_b32_e32 v16, v15, v14, vcc_lo
	s_or_b32 vcc_lo, s1, vcc_lo
	s_delay_alu instid0(VALU_DEP_1) | instskip(SKIP_2) | instid1(VALU_DEP_2)
	v_cndmask_b32_e64 v15, v16, v14, s1
	v_cndmask_b32_e32 v14, v18, v17, vcc_lo
	s_mov_b32 s1, exec_lo
	v_permlanex16_b32 v16, v15, s33, 0xfedcba98 op_sel:[1,1]
	s_delay_alu instid0(VALU_DEP_1)
	v_cmpx_ngt_f32_e32 v15, v16
; %bb.130:                              ;   in Loop: Header=BB21_116 Depth=1
	s_delay_alu instid0(VALU_DEP_3) | instskip(NEXT) | instid1(VALU_DEP_1)
	v_mov_b32_e32 v14, v14
	v_permlanex16_b32 v17, v14, s33, 0xfedcba98 op_sel:[1,1]
	v_cmp_eq_f32_e32 vcc_lo, v15, v16
	s_delay_alu instid0(VALU_DEP_2) | instskip(NEXT) | instid1(VALU_DEP_1)
	v_min_i32_e32 v14, v14, v17
	v_cndmask_b32_e32 v14, v17, v14, vcc_lo
; %bb.131:                              ;   in Loop: Header=BB21_116 Depth=1
	s_or_b32 exec_lo, exec_lo, s1
.LBB21_132:                             ;   in Loop: Header=BB21_116 Depth=1
	s_cbranch_execz .LBB21_136
	s_branch .LBB21_140
.LBB21_133:                             ;   in Loop: Header=BB21_116 Depth=1
                                        ; implicit-def: $vgpr14
	s_branch .LBB21_146
.LBB21_134:                             ;   in Loop: Header=BB21_116 Depth=1
                                        ; implicit-def: $vgpr14
	s_branch .LBB21_141
.LBB21_135:                             ;   in Loop: Header=BB21_116 Depth=1
                                        ; implicit-def: $vgpr14
.LBB21_136:                             ;   in Loop: Header=BB21_116 Depth=1
	v_mov_b32_e32 v14, v3
	s_cmp_eq_u32 s28, 16
	s_cbranch_scc0 .LBB21_140
; %bb.137:                              ;   in Loop: Header=BB21_116 Depth=1
	s_delay_alu instid0(VALU_DEP_1) | instskip(SKIP_1) | instid1(VALU_DEP_2)
	v_mov_b32_dpp v14, v4 quad_perm:[1,0,3,2] row_mask:0xf bank_mask:0xf
	v_mov_b32_dpp v15, v3 quad_perm:[1,0,3,2] row_mask:0xf bank_mask:0xf
	v_cmp_eq_f32_e32 vcc_lo, v4, v14
	s_delay_alu instid0(VALU_DEP_2) | instskip(SKIP_1) | instid1(VALU_DEP_2)
	v_cmp_lt_i32_e64 s1, v3, v15
	v_cmp_gt_f32_e64 s2, v4, v14
	s_and_b32 s1, vcc_lo, s1
	s_delay_alu instid0(VALU_DEP_1) | instid1(SALU_CYCLE_1)
	s_or_b32 vcc_lo, s2, s1
	v_dual_cndmask_b32 v14, v14, v4 :: v_dual_cndmask_b32 v15, v15, v3
	s_delay_alu instid0(VALU_DEP_1) | instskip(NEXT) | instid1(VALU_DEP_2)
	v_mov_b32_dpp v16, v14 quad_perm:[2,3,0,1] row_mask:0xf bank_mask:0xf
	v_mov_b32_dpp v17, v15 quad_perm:[2,3,0,1] row_mask:0xf bank_mask:0xf
	s_delay_alu instid0(VALU_DEP_2) | instskip(NEXT) | instid1(VALU_DEP_2)
	v_cmp_eq_f32_e32 vcc_lo, v14, v16
	v_cmp_lt_i32_e64 s1, v15, v17
	s_delay_alu instid0(VALU_DEP_1) | instskip(SKIP_2) | instid1(VALU_DEP_2)
	s_and_b32 vcc_lo, vcc_lo, s1
	v_cmp_gt_f32_e64 s1, v14, v16
	v_cndmask_b32_e32 v18, v16, v14, vcc_lo
	s_or_b32 vcc_lo, s1, vcc_lo
	s_delay_alu instid0(VALU_DEP_1) | instskip(SKIP_1) | instid1(VALU_DEP_2)
	v_cndmask_b32_e64 v14, v18, v14, s1
	v_cndmask_b32_e32 v16, v17, v15, vcc_lo
	v_mov_b32_dpp v15, v14 row_half_mirror row_mask:0xf bank_mask:0xf
	s_delay_alu instid0(VALU_DEP_2) | instskip(NEXT) | instid1(VALU_DEP_2)
	v_mov_b32_dpp v17, v16 row_half_mirror row_mask:0xf bank_mask:0xf
	v_cmp_eq_f32_e32 vcc_lo, v14, v15
	s_delay_alu instid0(VALU_DEP_2) | instskip(NEXT) | instid1(VALU_DEP_1)
	v_cmp_lt_i32_e64 s1, v16, v17
	s_and_b32 vcc_lo, vcc_lo, s1
	v_cmp_gt_f32_e64 s1, v14, v15
	v_cndmask_b32_e32 v18, v15, v14, vcc_lo
	s_delay_alu instid0(VALU_DEP_2) | instskip(NEXT) | instid1(VALU_DEP_1)
	s_or_b32 vcc_lo, s1, vcc_lo
	v_cndmask_b32_e64 v15, v18, v14, s1
	v_cndmask_b32_e32 v14, v17, v16, vcc_lo
	s_mov_b32 s1, exec_lo
	s_delay_alu instid0(VALU_DEP_2) | instskip(NEXT) | instid1(VALU_DEP_2)
	v_mov_b32_dpp v17, v15 row_mirror row_mask:0xf bank_mask:0xf
	v_mov_b32_dpp v16, v14 row_mirror row_mask:0xf bank_mask:0xf
	s_delay_alu instid0(VALU_DEP_2)
	v_cmpx_ngt_f32_e32 v15, v17
; %bb.138:                              ;   in Loop: Header=BB21_116 Depth=1
	s_delay_alu instid0(VALU_DEP_2) | instskip(SKIP_1) | instid1(VALU_DEP_2)
	v_min_i32_e32 v14, v14, v16
	v_cmp_eq_f32_e32 vcc_lo, v15, v17
	v_cndmask_b32_e32 v14, v16, v14, vcc_lo
; %bb.139:                              ;   in Loop: Header=BB21_116 Depth=1
	s_or_b32 exec_lo, exec_lo, s1
.LBB21_140:                             ;   in Loop: Header=BB21_116 Depth=1
	s_cbranch_execnz .LBB21_145
.LBB21_141:                             ;   in Loop: Header=BB21_116 Depth=1
	v_mov_b32_e32 v14, v3
	s_cmp_eq_u32 s28, 8
	s_cbranch_scc0 .LBB21_145
; %bb.142:                              ;   in Loop: Header=BB21_116 Depth=1
	s_delay_alu instid0(VALU_DEP_1) | instskip(SKIP_1) | instid1(VALU_DEP_2)
	v_mov_b32_dpp v14, v4 quad_perm:[1,0,3,2] row_mask:0xf bank_mask:0xf
	v_mov_b32_dpp v15, v3 quad_perm:[1,0,3,2] row_mask:0xf bank_mask:0xf
	v_cmp_eq_f32_e32 vcc_lo, v4, v14
	s_delay_alu instid0(VALU_DEP_2) | instskip(SKIP_1) | instid1(VALU_DEP_2)
	v_cmp_lt_i32_e64 s1, v3, v15
	v_cmp_gt_f32_e64 s2, v4, v14
	s_and_b32 s1, vcc_lo, s1
	s_delay_alu instid0(VALU_DEP_1) | instid1(SALU_CYCLE_1)
	s_or_b32 vcc_lo, s2, s1
	v_cndmask_b32_e32 v14, v14, v4, vcc_lo
	v_cndmask_b32_e32 v16, v15, v3, vcc_lo
	s_delay_alu instid0(VALU_DEP_2) | instskip(NEXT) | instid1(VALU_DEP_2)
	v_mov_b32_dpp v15, v14 quad_perm:[2,3,0,1] row_mask:0xf bank_mask:0xf
	v_mov_b32_dpp v17, v16 quad_perm:[2,3,0,1] row_mask:0xf bank_mask:0xf
	s_delay_alu instid0(VALU_DEP_2) | instskip(NEXT) | instid1(VALU_DEP_2)
	v_cmp_eq_f32_e32 vcc_lo, v14, v15
	v_cmp_lt_i32_e64 s1, v16, v17
	s_delay_alu instid0(VALU_DEP_1) | instskip(SKIP_2) | instid1(VALU_DEP_2)
	s_and_b32 vcc_lo, vcc_lo, s1
	v_cmp_gt_f32_e64 s1, v14, v15
	v_cndmask_b32_e32 v18, v15, v14, vcc_lo
	s_or_b32 vcc_lo, s1, vcc_lo
	s_delay_alu instid0(VALU_DEP_1) | instskip(SKIP_2) | instid1(VALU_DEP_2)
	v_cndmask_b32_e64 v15, v18, v14, s1
	v_cndmask_b32_e32 v14, v17, v16, vcc_lo
	s_mov_b32 s1, exec_lo
	v_mov_b32_dpp v17, v15 row_half_mirror row_mask:0xf bank_mask:0xf
	s_delay_alu instid0(VALU_DEP_2) | instskip(NEXT) | instid1(VALU_DEP_2)
	v_mov_b32_dpp v16, v14 row_half_mirror row_mask:0xf bank_mask:0xf
	v_cmpx_ngt_f32_e32 v15, v17
; %bb.143:                              ;   in Loop: Header=BB21_116 Depth=1
	s_delay_alu instid0(VALU_DEP_2) | instskip(SKIP_1) | instid1(VALU_DEP_2)
	v_min_i32_e32 v14, v14, v16
	v_cmp_eq_f32_e32 vcc_lo, v15, v17
	v_cndmask_b32_e32 v14, v16, v14, vcc_lo
; %bb.144:                              ;   in Loop: Header=BB21_116 Depth=1
	s_or_b32 exec_lo, exec_lo, s1
.LBB21_145:                             ;   in Loop: Header=BB21_116 Depth=1
	s_cbranch_execnz .LBB21_158
.LBB21_146:                             ;   in Loop: Header=BB21_116 Depth=1
	s_cmp_lt_i32 s28, 4
	s_cbranch_scc1 .LBB21_152
; %bb.147:                              ;   in Loop: Header=BB21_116 Depth=1
	v_mov_b32_e32 v14, v3
	s_cmp_eq_u32 s28, 4
	s_cbranch_scc0 .LBB21_151
; %bb.148:                              ;   in Loop: Header=BB21_116 Depth=1
	s_delay_alu instid0(VALU_DEP_1) | instskip(SKIP_1) | instid1(VALU_DEP_2)
	v_mov_b32_dpp v14, v4 quad_perm:[1,0,3,2] row_mask:0xf bank_mask:0xf
	v_mov_b32_dpp v16, v3 quad_perm:[1,0,3,2] row_mask:0xf bank_mask:0xf
	v_cmp_eq_f32_e32 vcc_lo, v4, v14
	s_delay_alu instid0(VALU_DEP_2) | instskip(SKIP_1) | instid1(VALU_DEP_2)
	v_cmp_lt_i32_e64 s1, v3, v16
	v_cmp_gt_f32_e64 s2, v4, v14
	s_and_b32 s1, vcc_lo, s1
	s_delay_alu instid0(VALU_DEP_1) | instid1(SALU_CYCLE_1)
	s_or_b32 vcc_lo, s2, s1
	s_mov_b32 s1, exec_lo
	v_dual_cndmask_b32 v15, v14, v4 :: v_dual_cndmask_b32 v14, v16, v3
	s_delay_alu instid0(VALU_DEP_1) | instskip(NEXT) | instid1(VALU_DEP_2)
	v_mov_b32_dpp v17, v15 quad_perm:[2,3,0,1] row_mask:0xf bank_mask:0xf
	v_mov_b32_dpp v16, v14 quad_perm:[2,3,0,1] row_mask:0xf bank_mask:0xf
	s_delay_alu instid0(VALU_DEP_2)
	v_cmpx_ngt_f32_e32 v15, v17
; %bb.149:                              ;   in Loop: Header=BB21_116 Depth=1
	s_delay_alu instid0(VALU_DEP_2) | instskip(SKIP_1) | instid1(VALU_DEP_2)
	v_min_i32_e32 v14, v14, v16
	v_cmp_eq_f32_e32 vcc_lo, v15, v17
	v_cndmask_b32_e32 v14, v16, v14, vcc_lo
; %bb.150:                              ;   in Loop: Header=BB21_116 Depth=1
	s_or_b32 exec_lo, exec_lo, s1
.LBB21_151:                             ;   in Loop: Header=BB21_116 Depth=1
	s_cbranch_execz .LBB21_153
	s_branch .LBB21_158
.LBB21_152:                             ;   in Loop: Header=BB21_116 Depth=1
                                        ; implicit-def: $vgpr14
.LBB21_153:                             ;   in Loop: Header=BB21_116 Depth=1
	s_cmp_lg_u32 s28, 2
	s_cbranch_scc1 .LBB21_157
; %bb.154:                              ;   in Loop: Header=BB21_116 Depth=1
	v_mov_b32_dpp v15, v4 quad_perm:[1,0,3,2] row_mask:0xf bank_mask:0xf
	v_mov_b32_dpp v14, v3 quad_perm:[1,0,3,2] row_mask:0xf bank_mask:0xf
	s_mov_b32 s1, exec_lo
	s_delay_alu instid0(VALU_DEP_2)
	v_cmpx_ngt_f32_e32 v4, v15
; %bb.155:                              ;   in Loop: Header=BB21_116 Depth=1
	s_delay_alu instid0(VALU_DEP_2) | instskip(SKIP_1) | instid1(VALU_DEP_2)
	v_min_i32_e32 v3, v3, v14
	v_cmp_eq_f32_e32 vcc_lo, v4, v15
	v_cndmask_b32_e32 v3, v14, v3, vcc_lo
; %bb.156:                              ;   in Loop: Header=BB21_116 Depth=1
	s_or_b32 exec_lo, exec_lo, s1
.LBB21_157:                             ;   in Loop: Header=BB21_116 Depth=1
	s_delay_alu instid0(VALU_DEP_1)
	v_mov_b32_e32 v14, v3
.LBB21_158:                             ;   in Loop: Header=BB21_116 Depth=1
	s_delay_alu instid0(VALU_DEP_1) | instskip(SKIP_1) | instid1(VALU_DEP_1)
	v_sub_nc_u32_e32 v3, 0, v14
	s_mov_b32 s1, exec_lo
	v_max_i32_e32 v3, v14, v3
	s_delay_alu instid0(VALU_DEP_1) | instskip(NEXT) | instid1(VALU_DEP_1)
	v_mul_hi_u32 v4, v3, v12
	v_mul_lo_u32 v15, v4, s30
	s_delay_alu instid0(VALU_DEP_1) | instskip(SKIP_1) | instid1(VALU_DEP_2)
	v_sub_nc_u32_e32 v3, v3, v15
	v_add_nc_u32_e32 v15, 1, v4
	v_subrev_nc_u32_e32 v16, s30, v3
	v_cmp_le_u32_e32 vcc_lo, s30, v3
	s_delay_alu instid0(VALU_DEP_2) | instskip(SKIP_1) | instid1(VALU_DEP_2)
	v_dual_cndmask_b32 v4, v4, v15 :: v_dual_cndmask_b32 v3, v3, v16
	v_ashrrev_i32_e32 v15, 31, v14
	v_add_nc_u32_e32 v16, 1, v4
	s_delay_alu instid0(VALU_DEP_3) | instskip(NEXT) | instid1(VALU_DEP_3)
	v_cmp_le_u32_e32 vcc_lo, s30, v3
	v_xor_b32_e32 v15, s31, v15
	s_delay_alu instid0(VALU_DEP_3) | instskip(NEXT) | instid1(VALU_DEP_1)
	v_cndmask_b32_e32 v3, v4, v16, vcc_lo
	v_xor_b32_e32 v3, v3, v15
	s_delay_alu instid0(VALU_DEP_1) | instskip(NEXT) | instid1(VALU_DEP_1)
	v_sub_nc_u32_e32 v3, v3, v15
	v_cmpx_eq_u32_e64 v9, v3
	s_cbranch_execz .LBB21_186
; %bb.159:                              ;   in Loop: Header=BB21_116 Depth=1
	s_and_not1_b32 vcc_lo, exec_lo, s14
	s_cbranch_vccnz .LBB21_185
; %bb.160:                              ;   in Loop: Header=BB21_116 Depth=1
	v_sub_nc_u32_e32 v17, v14, v2
	s_lshl_b64 s[34:35], s[8:9], 2
	s_mov_b32 s2, 0
	v_add_co_u32 v3, vcc_lo, v5, s34
	s_delay_alu instid0(VALU_DEP_2) | instskip(SKIP_2) | instid1(VALU_DEP_2)
	v_lshlrev_b32_e32 v16, 2, v17
	v_add_co_ci_u32_e32 v4, vcc_lo, s35, v8, vcc_lo
	s_and_not1_b32 vcc_lo, exec_lo, s25
	v_add_nc_u32_e32 v15, 0, v16
	v_add_nc_u32_e32 v16, 0x80, v16
	s_cbranch_vccnz .LBB21_180
; %bb.161:                              ;   in Loop: Header=BB21_116 Depth=1
	s_mov_b32 s34, 0
	s_branch .LBB21_163
.LBB21_162:                             ;   in Loop: Header=BB21_163 Depth=2
	s_or_b32 exec_lo, exec_lo, s35
	s_add_i32 s34, s34, 1
	s_delay_alu instid0(SALU_CYCLE_1)
	s_cmp_eq_u32 s34, s27
	s_cbranch_scc1 .LBB21_179
.LBB21_163:                             ;   Parent Loop BB21_116 Depth=1
                                        ; =>  This Inner Loop Header: Depth=2
	s_mov_b32 s2, s34
	s_mov_b32 s34, exec_lo
	v_cmpx_eq_u32_e64 s2, v17
	s_cbranch_execz .LBB21_165
; %bb.164:                              ;   in Loop: Header=BB21_163 Depth=2
	scratch_load_b32 v18, v15, off
	scratch_store_b32 v16, v13, off
	s_waitcnt vmcnt(0)
	flat_store_b32 v[3:4], v18
.LBB21_165:                             ;   in Loop: Header=BB21_163 Depth=2
	s_or_b32 exec_lo, exec_lo, s34
	s_add_i32 s34, s2, 1
	s_mov_b32 s35, exec_lo
	v_cmpx_eq_u32_e64 s34, v17
	s_cbranch_execz .LBB21_167
; %bb.166:                              ;   in Loop: Header=BB21_163 Depth=2
	scratch_load_b32 v18, v15, off
	scratch_store_b32 v16, v13, off
	s_waitcnt vmcnt(0)
	flat_store_b32 v[3:4], v18
.LBB21_167:                             ;   in Loop: Header=BB21_163 Depth=2
	s_or_b32 exec_lo, exec_lo, s35
	s_add_i32 s34, s34, 1
	;; [unrolled: 11-line block ×7, first 2 shown]
	s_mov_b32 s35, exec_lo
	v_cmpx_eq_u32_e64 s34, v17
	s_cbranch_execz .LBB21_162
; %bb.178:                              ;   in Loop: Header=BB21_163 Depth=2
	scratch_load_b32 v18, v15, off
	scratch_store_b32 v16, v13, off
	s_waitcnt vmcnt(0)
	flat_store_b32 v[3:4], v18
	s_branch .LBB21_162
.LBB21_179:                             ;   in Loop: Header=BB21_116 Depth=1
	s_add_i32 s2, s2, 8
.LBB21_180:                             ;   in Loop: Header=BB21_116 Depth=1
	s_and_not1_b32 vcc_lo, exec_lo, s29
	s_cbranch_vccnz .LBB21_185
; %bb.181:                              ;   in Loop: Header=BB21_116 Depth=1
	v_add_nc_u32_e32 v17, s2, v2
	s_mov_b32 s2, s24
	s_delay_alu instid0(VALU_DEP_1)
	v_sub_nc_u32_e32 v17, v17, v14
	s_branch .LBB21_183
.LBB21_182:                             ;   in Loop: Header=BB21_183 Depth=2
	s_or_b32 exec_lo, exec_lo, s34
	v_add_nc_u32_e32 v17, 1, v17
	s_add_i32 s2, s2, -1
	s_delay_alu instid0(SALU_CYCLE_1)
	s_cmp_lg_u32 s2, 0
	s_cbranch_scc0 .LBB21_185
.LBB21_183:                             ;   Parent Loop BB21_116 Depth=1
                                        ; =>  This Inner Loop Header: Depth=2
	s_mov_b32 s34, exec_lo
	s_delay_alu instid0(VALU_DEP_1)
	v_cmpx_eq_u32_e32 0, v17
	s_cbranch_execz .LBB21_182
; %bb.184:                              ;   in Loop: Header=BB21_183 Depth=2
	scratch_load_b32 v18, v15, off
	scratch_store_b32 v16, v13, off
	s_waitcnt vmcnt(0)
	flat_store_b32 v[3:4], v18
	s_branch .LBB21_182
.LBB21_185:                             ;   in Loop: Header=BB21_116 Depth=1
	s_lshl_b64 s[34:35], s[8:9], 2
	s_delay_alu instid0(SALU_CYCLE_1)
	v_add_co_u32 v3, vcc_lo, v7, s34
	v_add_co_ci_u32_e32 v4, vcc_lo, s35, v11, vcc_lo
	global_store_b32 v[3:4], v14, off
.LBB21_186:                             ;   in Loop: Header=BB21_116 Depth=1
	s_or_b32 exec_lo, exec_lo, s1
	s_waitcnt lgkmcnt(0)
	s_waitcnt_vscnt null, 0x0
	s_barrier
	buffer_gl0_inv
	s_and_saveexec_b32 s1, s0
	s_cbranch_execz .LBB21_115
; %bb.187:                              ;   in Loop: Header=BB21_116 Depth=1
	s_lshl_b64 s[34:35], s[8:9], 2
	s_delay_alu instid0(SALU_CYCLE_1)
	v_add_co_u32 v3, vcc_lo, v5, s34
	v_add_co_ci_u32_e32 v4, vcc_lo, s35, v8, vcc_lo
	flat_load_b32 v3, v[3:4]
	s_waitcnt vmcnt(0) lgkmcnt(0)
	v_add_f32_e32 v10, v10, v3
	s_branch .LBB21_115
.LBB21_188:
	v_mov_b32_e32 v10, 0
.LBB21_189:
	v_cmp_gt_i64_e64 s1, s[6:7], 0
	v_cmp_eq_u32_e64 s0, 0, v9
	s_delay_alu instid0(VALU_DEP_1) | instskip(NEXT) | instid1(SALU_CYCLE_1)
	s_and_b32 s1, s1, s0
	s_and_saveexec_b32 s8, s1
	s_cbranch_execz .LBB21_195
; %bb.190:
	v_cmp_le_u64_e32 vcc_lo, s[6:7], v[0:1]
	v_mov_b32_e32 v2, v1
	v_mov_b32_e32 v1, v0
	s_and_saveexec_b32 s1, vcc_lo
	s_cbranch_execz .LBB21_192
; %bb.191:
	v_cvt_f32_u32_e32 v1, s6
	s_sub_i32 s2, 0, s6
	s_delay_alu instid0(VALU_DEP_1) | instskip(SKIP_2) | instid1(VALU_DEP_1)
	v_rcp_iflag_f32_e32 v1, v1
	s_waitcnt_depctr 0xfff
	v_mul_f32_e32 v1, 0x4f7ffffe, v1
	v_cvt_u32_f32_e32 v1, v1
	s_delay_alu instid0(VALU_DEP_1) | instskip(NEXT) | instid1(VALU_DEP_1)
	v_mul_lo_u32 v2, s2, v1
	v_mul_hi_u32 v2, v1, v2
	s_delay_alu instid0(VALU_DEP_1) | instskip(NEXT) | instid1(VALU_DEP_1)
	v_add_nc_u32_e32 v1, v1, v2
	v_mul_hi_u32 v1, v0, v1
	s_delay_alu instid0(VALU_DEP_1) | instskip(NEXT) | instid1(VALU_DEP_1)
	v_mul_lo_u32 v1, v1, s6
	v_sub_nc_u32_e32 v1, v0, v1
	s_delay_alu instid0(VALU_DEP_1) | instskip(SKIP_1) | instid1(VALU_DEP_2)
	v_subrev_nc_u32_e32 v2, s6, v1
	v_cmp_le_u32_e32 vcc_lo, s6, v1
	v_cndmask_b32_e32 v1, v1, v2, vcc_lo
	s_delay_alu instid0(VALU_DEP_1) | instskip(SKIP_1) | instid1(VALU_DEP_2)
	v_subrev_nc_u32_e32 v2, s6, v1
	v_cmp_le_u32_e32 vcc_lo, s6, v1
	v_dual_cndmask_b32 v1, v1, v2 :: v_dual_mov_b32 v2, 0
.LBB21_192:
	s_or_b32 exec_lo, exec_lo, s1
	v_cvt_f64_f32_e32 v[3:4], v10
	s_ashr_i32 s1, s15, 31
	s_delay_alu instid0(VALU_DEP_1) | instskip(SKIP_1) | instid1(VALU_DEP_2)
	v_div_scale_f64 v[6:7], null, s[10:11], s[10:11], v[3:4]
	v_div_scale_f64 v[15:16], vcc_lo, v[3:4], s[10:11], v[3:4]
	v_rcp_f64_e32 v[11:12], v[6:7]
	s_waitcnt_depctr 0xfff
	v_fma_f64 v[13:14], -v[6:7], v[11:12], 1.0
	s_delay_alu instid0(VALU_DEP_1) | instskip(NEXT) | instid1(VALU_DEP_1)
	v_fma_f64 v[11:12], v[11:12], v[13:14], v[11:12]
	v_fma_f64 v[13:14], -v[6:7], v[11:12], 1.0
	s_delay_alu instid0(VALU_DEP_1) | instskip(NEXT) | instid1(VALU_DEP_1)
	v_fma_f64 v[11:12], v[11:12], v[13:14], v[11:12]
	v_mul_f64 v[13:14], v[15:16], v[11:12]
	s_delay_alu instid0(VALU_DEP_1) | instskip(NEXT) | instid1(VALU_DEP_1)
	v_fma_f64 v[6:7], -v[6:7], v[13:14], v[15:16]
	v_div_fmas_f64 v[6:7], v[6:7], v[11:12], v[13:14]
	v_add_nc_u32_e32 v13, s26, v1
	s_delay_alu instid0(VALU_DEP_2) | instskip(SKIP_1) | instid1(VALU_DEP_2)
	v_div_fixup_f64 v[3:4], v[6:7], s[10:11], v[3:4]
	v_mad_u64_u32 v[6:7], null, v0, s15, s[12:13]
	v_cvt_f32_f64_e32 v9, v[3:4]
	s_delay_alu instid0(VALU_DEP_2) | instskip(NEXT) | instid1(VALU_DEP_1)
	v_mov_b32_e32 v3, v7
	v_mad_u64_u32 v[11:12], null, v0, s1, v[3:4]
	v_cmp_lt_u64_e64 s1, s[6:7], 2
	s_delay_alu instid0(VALU_DEP_2) | instskip(NEXT) | instid1(VALU_DEP_1)
	v_mov_b32_e32 v7, v11
	v_lshlrev_b64 v[3:4], 2, v[6:7]
	s_delay_alu instid0(VALU_DEP_1) | instskip(NEXT) | instid1(VALU_DEP_2)
	v_add_co_u32 v6, vcc_lo, s22, v3
	v_add_co_ci_u32_e32 v7, vcc_lo, s23, v4, vcc_lo
	v_add_co_u32 v11, vcc_lo, s20, v3
	v_add_co_ci_u32_e32 v12, vcc_lo, s21, v4, vcc_lo
	s_and_b32 vcc_lo, exec_lo, s1
	global_store_b32 v[6:7], v13, off
	global_store_b32 v[11:12], v9, off
	s_cbranch_vccnz .LBB21_195
; %bb.193:
	v_add_co_u32 v6, vcc_lo, v3, 4
	v_add_co_ci_u32_e32 v7, vcc_lo, 0, v4, vcc_lo
	s_mov_b64 s[2:3], 1
	s_delay_alu instid0(VALU_DEP_2) | instskip(NEXT) | instid1(VALU_DEP_2)
	v_add_co_u32 v3, vcc_lo, s20, v6
	v_add_co_ci_u32_e32 v4, vcc_lo, s21, v7, vcc_lo
	v_add_co_u32 v6, vcc_lo, s22, v6
	v_add_co_ci_u32_e32 v7, vcc_lo, s23, v7, vcc_lo
	.p2align	6
.LBB21_194:                             ; =>This Inner Loop Header: Depth=1
	v_add_co_u32 v1, vcc_lo, v1, 1
	s_add_u32 s2, s2, 1
	s_addc_u32 s3, s3, 0
	v_add_co_ci_u32_e32 v2, vcc_lo, 0, v2, vcc_lo
	v_cmp_lt_u64_e64 s1, s[2:3], s[6:7]
	v_add_nc_u32_e32 v11, s26, v1
	global_store_b32 v[3:4], v9, off
	v_add_co_u32 v3, vcc_lo, v3, 4
	v_add_co_ci_u32_e32 v4, vcc_lo, 0, v4, vcc_lo
	s_and_b32 vcc_lo, exec_lo, s1
	global_store_b32 v[6:7], v11, off
	v_add_co_u32 v6, s1, v6, 4
	s_delay_alu instid0(VALU_DEP_1)
	v_add_co_ci_u32_e64 v7, s1, 0, v7, s1
	s_cbranch_vccnz .LBB21_194
.LBB21_195:
	s_or_b32 exec_lo, exec_lo, s8
	v_cmp_gt_i64_e64 s1, s[4:5], 0
	s_mov_b64 s[2:3], 0
	s_waitcnt_vscnt null, 0x0
	s_barrier
	buffer_gl0_inv
	s_and_b32 s0, s1, s0
	s_delay_alu instid0(SALU_CYCLE_1)
	s_and_b32 exec_lo, exec_lo, s0
	s_cbranch_execz .LBB21_202
; %bb.196:
	v_mad_u64_u32 v[1:2], null, v0, s15, 0
	s_ashr_i32 s0, s15, 31
	s_delay_alu instid0(VALU_DEP_1) | instid1(SALU_CYCLE_1)
	v_mad_u64_u32 v[3:4], null, v0, s0, v[2:3]
	v_cmp_lt_u64_e64 s0, s[4:5], 8
	s_delay_alu instid0(VALU_DEP_2) | instskip(NEXT) | instid1(VALU_DEP_1)
	v_mov_b32_e32 v2, v3
	v_lshlrev_b64 v[0:1], 2, v[1:2]
	s_delay_alu instid0(VALU_DEP_1) | instskip(NEXT) | instid1(VALU_DEP_2)
	v_add_co_u32 v0, vcc_lo, s20, v0
	v_add_co_ci_u32_e32 v1, vcc_lo, s21, v1, vcc_lo
	s_and_b32 vcc_lo, exec_lo, s0
	s_cbranch_vccnz .LBB21_199
; %bb.197:
	s_and_b32 s3, s5, 0x7fffffff
	s_and_b32 s2, s4, -8
	s_mov_b64 s[0:1], 0
	s_mov_b64 s[6:7], s[2:3]
.LBB21_198:                             ; =>This Inner Loop Header: Depth=1
	v_add_co_u32 v2, vcc_lo, v5, s0
	v_add_co_ci_u32_e32 v3, vcc_lo, s1, v8, vcc_lo
	flat_load_b32 v4, v[2:3]
	s_waitcnt vmcnt(0) lgkmcnt(0)
	v_div_scale_f32 v6, null, v10, v10, v4
	v_div_scale_f32 v11, vcc_lo, v4, v10, v4
	s_delay_alu instid0(VALU_DEP_2) | instskip(SKIP_2) | instid1(VALU_DEP_1)
	v_rcp_f32_e32 v7, v6
	s_waitcnt_depctr 0xfff
	v_fma_f32 v9, -v6, v7, 1.0
	v_fmac_f32_e32 v7, v9, v7
	s_delay_alu instid0(VALU_DEP_1) | instskip(NEXT) | instid1(VALU_DEP_1)
	v_mul_f32_e32 v9, v11, v7
	v_fma_f32 v12, -v6, v9, v11
	s_delay_alu instid0(VALU_DEP_1) | instskip(NEXT) | instid1(VALU_DEP_1)
	v_fmac_f32_e32 v9, v12, v7
	v_fma_f32 v6, -v6, v9, v11
	s_delay_alu instid0(VALU_DEP_1) | instskip(SKIP_2) | instid1(VALU_DEP_3)
	v_div_fmas_f32 v9, v6, v7, v9
	v_add_co_u32 v6, vcc_lo, v0, s0
	v_add_co_ci_u32_e32 v7, vcc_lo, s1, v1, vcc_lo
	v_div_fixup_f32 v4, v9, v10, v4
	s_add_u32 s0, s0, 32
	s_addc_u32 s1, s1, 0
	s_add_u32 s6, s6, -8
	s_addc_u32 s7, s7, -1
	global_store_b32 v[6:7], v4, off
	flat_load_b32 v4, v[2:3] offset:4
	s_cmp_lg_u64 s[6:7], 0
	s_waitcnt vmcnt(0) lgkmcnt(0)
	v_div_scale_f32 v9, null, v10, v10, v4
	v_div_scale_f32 v13, vcc_lo, v4, v10, v4
	s_delay_alu instid0(VALU_DEP_2) | instskip(SKIP_2) | instid1(VALU_DEP_1)
	v_rcp_f32_e32 v11, v9
	s_waitcnt_depctr 0xfff
	v_fma_f32 v12, -v9, v11, 1.0
	v_fmac_f32_e32 v11, v12, v11
	s_delay_alu instid0(VALU_DEP_1) | instskip(NEXT) | instid1(VALU_DEP_1)
	v_mul_f32_e32 v12, v13, v11
	v_fma_f32 v14, -v9, v12, v13
	s_delay_alu instid0(VALU_DEP_1) | instskip(NEXT) | instid1(VALU_DEP_1)
	v_fmac_f32_e32 v12, v14, v11
	v_fma_f32 v9, -v9, v12, v13
	s_delay_alu instid0(VALU_DEP_1) | instskip(NEXT) | instid1(VALU_DEP_1)
	v_div_fmas_f32 v9, v9, v11, v12
	v_div_fixup_f32 v4, v9, v10, v4
	global_store_b32 v[6:7], v4, off offset:4
	flat_load_b32 v4, v[2:3] offset:8
	s_waitcnt vmcnt(0) lgkmcnt(0)
	v_div_scale_f32 v9, null, v10, v10, v4
	v_div_scale_f32 v13, vcc_lo, v4, v10, v4
	s_delay_alu instid0(VALU_DEP_2) | instskip(SKIP_2) | instid1(VALU_DEP_1)
	v_rcp_f32_e32 v11, v9
	s_waitcnt_depctr 0xfff
	v_fma_f32 v12, -v9, v11, 1.0
	v_fmac_f32_e32 v11, v12, v11
	s_delay_alu instid0(VALU_DEP_1) | instskip(NEXT) | instid1(VALU_DEP_1)
	v_mul_f32_e32 v12, v13, v11
	v_fma_f32 v14, -v9, v12, v13
	s_delay_alu instid0(VALU_DEP_1) | instskip(NEXT) | instid1(VALU_DEP_1)
	v_fmac_f32_e32 v12, v14, v11
	v_fma_f32 v9, -v9, v12, v13
	s_delay_alu instid0(VALU_DEP_1) | instskip(NEXT) | instid1(VALU_DEP_1)
	v_div_fmas_f32 v9, v9, v11, v12
	v_div_fixup_f32 v4, v9, v10, v4
	global_store_b32 v[6:7], v4, off offset:8
	flat_load_b32 v4, v[2:3] offset:12
	;; [unrolled: 19-line block ×6, first 2 shown]
	s_waitcnt vmcnt(0) lgkmcnt(0)
	v_div_scale_f32 v3, null, v10, v10, v2
	v_div_scale_f32 v11, vcc_lo, v2, v10, v2
	s_delay_alu instid0(VALU_DEP_2) | instskip(SKIP_2) | instid1(VALU_DEP_1)
	v_rcp_f32_e32 v4, v3
	s_waitcnt_depctr 0xfff
	v_fma_f32 v9, -v3, v4, 1.0
	v_fmac_f32_e32 v4, v9, v4
	s_delay_alu instid0(VALU_DEP_1) | instskip(NEXT) | instid1(VALU_DEP_1)
	v_mul_f32_e32 v9, v11, v4
	v_fma_f32 v12, -v3, v9, v11
	s_delay_alu instid0(VALU_DEP_1) | instskip(NEXT) | instid1(VALU_DEP_1)
	v_fmac_f32_e32 v9, v12, v4
	v_fma_f32 v3, -v3, v9, v11
	s_delay_alu instid0(VALU_DEP_1) | instskip(NEXT) | instid1(VALU_DEP_1)
	v_div_fmas_f32 v3, v3, v4, v9
	v_div_fixup_f32 v2, v3, v10, v2
	global_store_b32 v[6:7], v2, off offset:28
	s_cbranch_scc1 .LBB21_198
.LBB21_199:
	s_and_b32 s0, s4, 7
	s_mov_b32 s1, 0
	s_delay_alu instid0(SALU_CYCLE_1)
	s_cmp_eq_u64 s[0:1], 0
	s_cbranch_scc1 .LBB21_202
; %bb.200:
	s_mov_b64 s[4:5], s[0:1]
	s_set_inst_prefetch_distance 0x1
	.p2align	6
.LBB21_201:                             ; =>This Inner Loop Header: Depth=1
	s_lshl_b64 s[6:7], s[2:3], 2
	s_add_i32 s0, s2, 1
	v_add_co_u32 v2, vcc_lo, v5, s6
	v_add_co_ci_u32_e32 v3, vcc_lo, s7, v8, vcc_lo
	s_add_u32 s4, s4, -1
	s_addc_u32 s5, s5, -1
	s_mov_b64 s[2:3], s[0:1]
	flat_load_b32 v4, v[2:3]
	s_cmp_lg_u64 s[4:5], 0
	s_waitcnt vmcnt(0) lgkmcnt(0)
	v_div_scale_f32 v2, null, v10, v10, v4
	v_div_scale_f32 v7, vcc_lo, v4, v10, v4
	s_delay_alu instid0(VALU_DEP_2) | instskip(SKIP_2) | instid1(VALU_DEP_1)
	v_rcp_f32_e32 v3, v2
	s_waitcnt_depctr 0xfff
	v_fma_f32 v6, -v2, v3, 1.0
	v_fmac_f32_e32 v3, v6, v3
	s_delay_alu instid0(VALU_DEP_1) | instskip(NEXT) | instid1(VALU_DEP_1)
	v_mul_f32_e32 v6, v7, v3
	v_fma_f32 v9, -v2, v6, v7
	s_delay_alu instid0(VALU_DEP_1) | instskip(NEXT) | instid1(VALU_DEP_1)
	v_fmac_f32_e32 v6, v9, v3
	v_fma_f32 v2, -v2, v6, v7
	s_delay_alu instid0(VALU_DEP_1) | instskip(SKIP_2) | instid1(VALU_DEP_3)
	v_div_fmas_f32 v6, v2, v3, v6
	v_add_co_u32 v2, vcc_lo, v0, s6
	v_add_co_ci_u32_e32 v3, vcc_lo, s7, v1, vcc_lo
	v_div_fixup_f32 v4, v6, v10, v4
	global_store_b32 v[2:3], v4, off
	s_cbranch_scc1 .LBB21_201
.LBB21_202:
	s_set_inst_prefetch_distance 0x2
	s_nop 0
	s_sendmsg sendmsg(MSG_DEALLOC_VGPRS)
	s_endpgm
	.section	.rodata,"a",@progbits
	.p2align	6, 0x0
	.amdhsa_kernel _Z29moe_fused_gate_kernel_dynamicIfEvPvS0_PfPilllllldi
		.amdhsa_group_segment_fixed_size 0
		.amdhsa_private_segment_fixed_size 272
		.amdhsa_kernarg_size 92
		.amdhsa_user_sgpr_count 15
		.amdhsa_user_sgpr_dispatch_ptr 0
		.amdhsa_user_sgpr_queue_ptr 0
		.amdhsa_user_sgpr_kernarg_segment_ptr 1
		.amdhsa_user_sgpr_dispatch_id 0
		.amdhsa_user_sgpr_private_segment_size 0
		.amdhsa_wavefront_size32 1
		.amdhsa_uses_dynamic_stack 0
		.amdhsa_enable_private_segment 1
		.amdhsa_system_sgpr_workgroup_id_x 1
		.amdhsa_system_sgpr_workgroup_id_y 0
		.amdhsa_system_sgpr_workgroup_id_z 0
		.amdhsa_system_sgpr_workgroup_info 0
		.amdhsa_system_vgpr_workitem_id 1
		.amdhsa_next_free_vgpr 29
		.amdhsa_next_free_sgpr 37
		.amdhsa_reserve_vcc 1
		.amdhsa_float_round_mode_32 0
		.amdhsa_float_round_mode_16_64 0
		.amdhsa_float_denorm_mode_32 3
		.amdhsa_float_denorm_mode_16_64 3
		.amdhsa_dx10_clamp 1
		.amdhsa_ieee_mode 1
		.amdhsa_fp16_overflow 0
		.amdhsa_workgroup_processor_mode 1
		.amdhsa_memory_ordered 1
		.amdhsa_forward_progress 0
		.amdhsa_shared_vgpr_count 0
		.amdhsa_exception_fp_ieee_invalid_op 0
		.amdhsa_exception_fp_denorm_src 0
		.amdhsa_exception_fp_ieee_div_zero 0
		.amdhsa_exception_fp_ieee_overflow 0
		.amdhsa_exception_fp_ieee_underflow 0
		.amdhsa_exception_fp_ieee_inexact 0
		.amdhsa_exception_int_div_zero 0
	.end_amdhsa_kernel
	.section	.text._Z29moe_fused_gate_kernel_dynamicIfEvPvS0_PfPilllllldi,"axG",@progbits,_Z29moe_fused_gate_kernel_dynamicIfEvPvS0_PfPilllllldi,comdat
.Lfunc_end21:
	.size	_Z29moe_fused_gate_kernel_dynamicIfEvPvS0_PfPilllllldi, .Lfunc_end21-_Z29moe_fused_gate_kernel_dynamicIfEvPvS0_PfPilllllldi
                                        ; -- End function
	.section	.AMDGPU.csdata,"",@progbits
; Kernel info:
; codeLenInByte = 10412
; NumSgprs: 39
; NumVgprs: 29
; ScratchSize: 272
; MemoryBound: 0
; FloatMode: 240
; IeeeMode: 1
; LDSByteSize: 0 bytes/workgroup (compile time only)
; SGPRBlocks: 4
; VGPRBlocks: 3
; NumSGPRsForWavesPerEU: 39
; NumVGPRsForWavesPerEU: 29
; Occupancy: 16
; WaveLimiterHint : 0
; COMPUTE_PGM_RSRC2:SCRATCH_EN: 1
; COMPUTE_PGM_RSRC2:USER_SGPR: 15
; COMPUTE_PGM_RSRC2:TRAP_HANDLER: 0
; COMPUTE_PGM_RSRC2:TGID_X_EN: 1
; COMPUTE_PGM_RSRC2:TGID_Y_EN: 0
; COMPUTE_PGM_RSRC2:TGID_Z_EN: 0
; COMPUTE_PGM_RSRC2:TIDIG_COMP_CNT: 1
	.text
	.p2alignl 7, 3214868480
	.fill 96, 4, 3214868480
	.type	__hip_cuid_3affe824e9ccb057,@object ; @__hip_cuid_3affe824e9ccb057
	.section	.bss,"aw",@nobits
	.globl	__hip_cuid_3affe824e9ccb057
__hip_cuid_3affe824e9ccb057:
	.byte	0                               ; 0x0
	.size	__hip_cuid_3affe824e9ccb057, 1

	.ident	"AMD clang version 19.0.0git (https://github.com/RadeonOpenCompute/llvm-project roc-6.4.0 25133 c7fe45cf4b819c5991fe208aaa96edf142730f1d)"
	.section	".note.GNU-stack","",@progbits
	.addrsig
	.addrsig_sym shared_mem
	.addrsig_sym __hip_cuid_3affe824e9ccb057
	.amdgpu_metadata
---
amdhsa.kernels:
  - .args:           []
    .group_segment_fixed_size: 0
    .kernarg_segment_align: 4
    .kernarg_segment_size: 0
    .language:       OpenCL C
    .language_version:
      - 2
      - 0
    .max_flat_workgroup_size: 1024
    .name:           _ZN7ck_tileL11flush_cacheEv
    .private_segment_fixed_size: 0
    .sgpr_count:     0
    .sgpr_spill_count: 0
    .symbol:         _ZN7ck_tileL11flush_cacheEv.kd
    .uniform_work_group_size: 1
    .uses_dynamic_stack: false
    .vgpr_count:     0
    .vgpr_spill_count: 0
    .wavefront_size: 32
    .workgroup_processor_mode: 1
  - .args:
      - .address_space:  global
        .offset:         0
        .size:           8
        .value_kind:     global_buffer
      - .address_space:  global
        .offset:         8
        .size:           8
        .value_kind:     global_buffer
      - .address_space:  global
        .offset:         16
        .size:           8
        .value_kind:     global_buffer
      - .address_space:  global
        .offset:         24
        .size:           8
        .value_kind:     global_buffer
      - .offset:         32
        .size:           8
        .value_kind:     by_value
      - .offset:         40
        .size:           8
        .value_kind:     by_value
      - .offset:         48
        .size:           8
        .value_kind:     by_value
      - .offset:         56
        .size:           8
        .value_kind:     by_value
      - .offset:         64
        .size:           8
        .value_kind:     by_value
      - .offset:         72
        .size:           4
        .value_kind:     by_value
    .group_segment_fixed_size: 0
    .kernarg_segment_align: 8
    .kernarg_segment_size: 76
    .language:       OpenCL C
    .language_version:
      - 2
      - 0
    .max_flat_workgroup_size: 1024
    .name:           _Z21moe_fused_gate_kernelItLi32ELi256ELi8ELi1EEvPvS0_PfPilllldi
    .private_segment_fixed_size: 0
    .sgpr_count:     54
    .sgpr_spill_count: 0
    .symbol:         _Z21moe_fused_gate_kernelItLi32ELi256ELi8ELi1EEvPvS0_PfPilllldi.kd
    .uniform_work_group_size: 1
    .uses_dynamic_stack: false
    .vgpr_count:     81
    .vgpr_spill_count: 0
    .wavefront_size: 32
    .workgroup_processor_mode: 1
  - .args:
      - .address_space:  global
        .offset:         0
        .size:           8
        .value_kind:     global_buffer
      - .address_space:  global
        .offset:         8
        .size:           8
        .value_kind:     global_buffer
      - .address_space:  global
        .offset:         16
        .size:           8
        .value_kind:     global_buffer
      - .address_space:  global
        .offset:         24
        .size:           8
        .value_kind:     global_buffer
      - .offset:         32
        .size:           8
        .value_kind:     by_value
      - .offset:         40
        .size:           8
        .value_kind:     by_value
      - .offset:         48
        .size:           8
        .value_kind:     by_value
      - .offset:         56
        .size:           8
        .value_kind:     by_value
      - .offset:         64
        .size:           8
        .value_kind:     by_value
      - .offset:         72
        .size:           4
        .value_kind:     by_value
    .group_segment_fixed_size: 0
    .kernarg_segment_align: 8
    .kernarg_segment_size: 76
    .language:       OpenCL C
    .language_version:
      - 2
      - 0
    .max_flat_workgroup_size: 1024
    .name:           _Z21moe_fused_gate_kernelIDF16_Li32ELi256ELi8ELi1EEvPvS0_PfPilllldi
    .private_segment_fixed_size: 0
    .sgpr_count:     54
    .sgpr_spill_count: 0
    .symbol:         _Z21moe_fused_gate_kernelIDF16_Li32ELi256ELi8ELi1EEvPvS0_PfPilllldi.kd
    .uniform_work_group_size: 1
    .uses_dynamic_stack: false
    .vgpr_count:     81
    .vgpr_spill_count: 0
    .wavefront_size: 32
    .workgroup_processor_mode: 1
  - .args:
      - .address_space:  global
        .offset:         0
        .size:           8
        .value_kind:     global_buffer
      - .address_space:  global
        .offset:         8
        .size:           8
        .value_kind:     global_buffer
      - .address_space:  global
        .offset:         16
        .size:           8
        .value_kind:     global_buffer
      - .address_space:  global
        .offset:         24
        .size:           8
        .value_kind:     global_buffer
      - .offset:         32
        .size:           8
        .value_kind:     by_value
      - .offset:         40
        .size:           8
        .value_kind:     by_value
      - .offset:         48
        .size:           8
        .value_kind:     by_value
      - .offset:         56
        .size:           8
        .value_kind:     by_value
      - .offset:         64
        .size:           8
        .value_kind:     by_value
      - .offset:         72
        .size:           4
        .value_kind:     by_value
    .group_segment_fixed_size: 0
    .kernarg_segment_align: 8
    .kernarg_segment_size: 76
    .language:       OpenCL C
    .language_version:
      - 2
      - 0
    .max_flat_workgroup_size: 1024
    .name:           _Z21moe_fused_gate_kernelIfLi32ELi256ELi8ELi1EEvPvS0_PfPilllldi
    .private_segment_fixed_size: 0
    .sgpr_count:     54
    .sgpr_spill_count: 0
    .symbol:         _Z21moe_fused_gate_kernelIfLi32ELi256ELi8ELi1EEvPvS0_PfPilllldi.kd
    .uniform_work_group_size: 1
    .uses_dynamic_stack: false
    .vgpr_count:     81
    .vgpr_spill_count: 0
    .wavefront_size: 32
    .workgroup_processor_mode: 1
  - .args:
      - .address_space:  global
        .offset:         0
        .size:           8
        .value_kind:     global_buffer
      - .address_space:  global
        .offset:         8
        .size:           8
        .value_kind:     global_buffer
      - .address_space:  global
        .offset:         16
        .size:           8
        .value_kind:     global_buffer
      - .address_space:  global
        .offset:         24
        .size:           8
        .value_kind:     global_buffer
      - .offset:         32
        .size:           8
        .value_kind:     by_value
      - .offset:         40
        .size:           8
        .value_kind:     by_value
      - .offset:         48
        .size:           8
        .value_kind:     by_value
      - .offset:         56
        .size:           8
        .value_kind:     by_value
      - .offset:         64
        .size:           8
        .value_kind:     by_value
      - .offset:         72
        .size:           4
        .value_kind:     by_value
    .group_segment_fixed_size: 0
    .kernarg_segment_align: 8
    .kernarg_segment_size: 76
    .language:       OpenCL C
    .language_version:
      - 2
      - 0
    .max_flat_workgroup_size: 1024
    .name:           _Z21moe_fused_gate_kernelItLi16ELi256ELi16ELi1EEvPvS0_PfPilllldi
    .private_segment_fixed_size: 0
    .sgpr_count:     36
    .sgpr_spill_count: 0
    .symbol:         _Z21moe_fused_gate_kernelItLi16ELi256ELi16ELi1EEvPvS0_PfPilllldi.kd
    .uniform_work_group_size: 1
    .uses_dynamic_stack: false
    .vgpr_count:     49
    .vgpr_spill_count: 0
    .wavefront_size: 32
    .workgroup_processor_mode: 1
  - .args:
      - .address_space:  global
        .offset:         0
        .size:           8
        .value_kind:     global_buffer
      - .address_space:  global
        .offset:         8
        .size:           8
        .value_kind:     global_buffer
      - .address_space:  global
        .offset:         16
        .size:           8
        .value_kind:     global_buffer
      - .address_space:  global
        .offset:         24
        .size:           8
        .value_kind:     global_buffer
      - .offset:         32
        .size:           8
        .value_kind:     by_value
      - .offset:         40
        .size:           8
        .value_kind:     by_value
      - .offset:         48
        .size:           8
        .value_kind:     by_value
      - .offset:         56
        .size:           8
        .value_kind:     by_value
      - .offset:         64
        .size:           8
        .value_kind:     by_value
      - .offset:         72
        .size:           4
        .value_kind:     by_value
    .group_segment_fixed_size: 0
    .kernarg_segment_align: 8
    .kernarg_segment_size: 76
    .language:       OpenCL C
    .language_version:
      - 2
      - 0
    .max_flat_workgroup_size: 1024
    .name:           _Z21moe_fused_gate_kernelIDF16_Li16ELi256ELi16ELi1EEvPvS0_PfPilllldi
    .private_segment_fixed_size: 0
    .sgpr_count:     36
    .sgpr_spill_count: 0
    .symbol:         _Z21moe_fused_gate_kernelIDF16_Li16ELi256ELi16ELi1EEvPvS0_PfPilllldi.kd
    .uniform_work_group_size: 1
    .uses_dynamic_stack: false
    .vgpr_count:     49
    .vgpr_spill_count: 0
    .wavefront_size: 32
    .workgroup_processor_mode: 1
  - .args:
      - .address_space:  global
        .offset:         0
        .size:           8
        .value_kind:     global_buffer
      - .address_space:  global
        .offset:         8
        .size:           8
        .value_kind:     global_buffer
      - .address_space:  global
        .offset:         16
        .size:           8
        .value_kind:     global_buffer
      - .address_space:  global
        .offset:         24
        .size:           8
        .value_kind:     global_buffer
      - .offset:         32
        .size:           8
        .value_kind:     by_value
      - .offset:         40
        .size:           8
        .value_kind:     by_value
      - .offset:         48
        .size:           8
        .value_kind:     by_value
      - .offset:         56
        .size:           8
        .value_kind:     by_value
      - .offset:         64
        .size:           8
        .value_kind:     by_value
      - .offset:         72
        .size:           4
        .value_kind:     by_value
    .group_segment_fixed_size: 0
    .kernarg_segment_align: 8
    .kernarg_segment_size: 76
    .language:       OpenCL C
    .language_version:
      - 2
      - 0
    .max_flat_workgroup_size: 1024
    .name:           _Z21moe_fused_gate_kernelIfLi16ELi256ELi16ELi1EEvPvS0_PfPilllldi
    .private_segment_fixed_size: 0
    .sgpr_count:     36
    .sgpr_spill_count: 0
    .symbol:         _Z21moe_fused_gate_kernelIfLi16ELi256ELi16ELi1EEvPvS0_PfPilllldi.kd
    .uniform_work_group_size: 1
    .uses_dynamic_stack: false
    .vgpr_count:     49
    .vgpr_spill_count: 0
    .wavefront_size: 32
    .workgroup_processor_mode: 1
  - .args:
      - .address_space:  global
        .offset:         0
        .size:           8
        .value_kind:     global_buffer
      - .address_space:  global
        .offset:         8
        .size:           8
        .value_kind:     global_buffer
      - .address_space:  global
        .offset:         16
        .size:           8
        .value_kind:     global_buffer
      - .address_space:  global
        .offset:         24
        .size:           8
        .value_kind:     global_buffer
      - .offset:         32
        .size:           8
        .value_kind:     by_value
      - .offset:         40
        .size:           8
        .value_kind:     by_value
      - .offset:         48
        .size:           8
        .value_kind:     by_value
      - .offset:         56
        .size:           8
        .value_kind:     by_value
      - .offset:         64
        .size:           8
        .value_kind:     by_value
      - .offset:         72
        .size:           4
        .value_kind:     by_value
    .group_segment_fixed_size: 0
    .kernarg_segment_align: 8
    .kernarg_segment_size: 76
    .language:       OpenCL C
    .language_version:
      - 2
      - 0
    .max_flat_workgroup_size: 1024
    .name:           _Z21moe_fused_gate_kernelItLi24ELi192ELi8ELi1EEvPvS0_PfPilllldi
    .private_segment_fixed_size: 0
    .sgpr_count:     54
    .sgpr_spill_count: 0
    .symbol:         _Z21moe_fused_gate_kernelItLi24ELi192ELi8ELi1EEvPvS0_PfPilllldi.kd
    .uniform_work_group_size: 1
    .uses_dynamic_stack: false
    .vgpr_count:     80
    .vgpr_spill_count: 0
    .wavefront_size: 32
    .workgroup_processor_mode: 1
  - .args:
      - .address_space:  global
        .offset:         0
        .size:           8
        .value_kind:     global_buffer
      - .address_space:  global
        .offset:         8
        .size:           8
        .value_kind:     global_buffer
      - .address_space:  global
        .offset:         16
        .size:           8
        .value_kind:     global_buffer
      - .address_space:  global
        .offset:         24
        .size:           8
        .value_kind:     global_buffer
      - .offset:         32
        .size:           8
        .value_kind:     by_value
      - .offset:         40
        .size:           8
        .value_kind:     by_value
      - .offset:         48
        .size:           8
        .value_kind:     by_value
      - .offset:         56
        .size:           8
        .value_kind:     by_value
      - .offset:         64
        .size:           8
        .value_kind:     by_value
      - .offset:         72
        .size:           4
        .value_kind:     by_value
    .group_segment_fixed_size: 0
    .kernarg_segment_align: 8
    .kernarg_segment_size: 76
    .language:       OpenCL C
    .language_version:
      - 2
      - 0
    .max_flat_workgroup_size: 1024
    .name:           _Z21moe_fused_gate_kernelIDF16_Li24ELi192ELi8ELi1EEvPvS0_PfPilllldi
    .private_segment_fixed_size: 0
    .sgpr_count:     54
    .sgpr_spill_count: 0
    .symbol:         _Z21moe_fused_gate_kernelIDF16_Li24ELi192ELi8ELi1EEvPvS0_PfPilllldi.kd
    .uniform_work_group_size: 1
    .uses_dynamic_stack: false
    .vgpr_count:     80
    .vgpr_spill_count: 0
    .wavefront_size: 32
    .workgroup_processor_mode: 1
  - .args:
      - .address_space:  global
        .offset:         0
        .size:           8
        .value_kind:     global_buffer
      - .address_space:  global
        .offset:         8
        .size:           8
        .value_kind:     global_buffer
      - .address_space:  global
        .offset:         16
        .size:           8
        .value_kind:     global_buffer
      - .address_space:  global
        .offset:         24
        .size:           8
        .value_kind:     global_buffer
      - .offset:         32
        .size:           8
        .value_kind:     by_value
      - .offset:         40
        .size:           8
        .value_kind:     by_value
      - .offset:         48
        .size:           8
        .value_kind:     by_value
      - .offset:         56
        .size:           8
        .value_kind:     by_value
      - .offset:         64
        .size:           8
        .value_kind:     by_value
      - .offset:         72
        .size:           4
        .value_kind:     by_value
    .group_segment_fixed_size: 0
    .kernarg_segment_align: 8
    .kernarg_segment_size: 76
    .language:       OpenCL C
    .language_version:
      - 2
      - 0
    .max_flat_workgroup_size: 1024
    .name:           _Z21moe_fused_gate_kernelIfLi24ELi192ELi8ELi1EEvPvS0_PfPilllldi
    .private_segment_fixed_size: 0
    .sgpr_count:     54
    .sgpr_spill_count: 0
    .symbol:         _Z21moe_fused_gate_kernelIfLi24ELi192ELi8ELi1EEvPvS0_PfPilllldi.kd
    .uniform_work_group_size: 1
    .uses_dynamic_stack: false
    .vgpr_count:     80
    .vgpr_spill_count: 0
    .wavefront_size: 32
    .workgroup_processor_mode: 1
  - .args:
      - .address_space:  global
        .offset:         0
        .size:           8
        .value_kind:     global_buffer
      - .address_space:  global
        .offset:         8
        .size:           8
        .value_kind:     global_buffer
      - .address_space:  global
        .offset:         16
        .size:           8
        .value_kind:     global_buffer
      - .address_space:  global
        .offset:         24
        .size:           8
        .value_kind:     global_buffer
      - .offset:         32
        .size:           8
        .value_kind:     by_value
      - .offset:         40
        .size:           8
        .value_kind:     by_value
      - .offset:         48
        .size:           8
        .value_kind:     by_value
      - .offset:         56
        .size:           8
        .value_kind:     by_value
      - .offset:         64
        .size:           8
        .value_kind:     by_value
      - .offset:         72
        .size:           4
        .value_kind:     by_value
    .group_segment_fixed_size: 0
    .kernarg_segment_align: 8
    .kernarg_segment_size: 76
    .language:       OpenCL C
    .language_version:
      - 2
      - 0
    .max_flat_workgroup_size: 1024
    .name:           _Z21moe_fused_gate_kernelItLi32ELi128ELi4ELi1EEvPvS0_PfPilllldi
    .private_segment_fixed_size: 0
    .sgpr_count:     54
    .sgpr_spill_count: 0
    .symbol:         _Z21moe_fused_gate_kernelItLi32ELi128ELi4ELi1EEvPvS0_PfPilllldi.kd
    .uniform_work_group_size: 1
    .uses_dynamic_stack: false
    .vgpr_count:     81
    .vgpr_spill_count: 0
    .wavefront_size: 32
    .workgroup_processor_mode: 1
  - .args:
      - .address_space:  global
        .offset:         0
        .size:           8
        .value_kind:     global_buffer
      - .address_space:  global
        .offset:         8
        .size:           8
        .value_kind:     global_buffer
      - .address_space:  global
        .offset:         16
        .size:           8
        .value_kind:     global_buffer
      - .address_space:  global
        .offset:         24
        .size:           8
        .value_kind:     global_buffer
      - .offset:         32
        .size:           8
        .value_kind:     by_value
      - .offset:         40
        .size:           8
        .value_kind:     by_value
      - .offset:         48
        .size:           8
        .value_kind:     by_value
      - .offset:         56
        .size:           8
        .value_kind:     by_value
      - .offset:         64
        .size:           8
        .value_kind:     by_value
      - .offset:         72
        .size:           4
        .value_kind:     by_value
    .group_segment_fixed_size: 0
    .kernarg_segment_align: 8
    .kernarg_segment_size: 76
    .language:       OpenCL C
    .language_version:
      - 2
      - 0
    .max_flat_workgroup_size: 1024
    .name:           _Z21moe_fused_gate_kernelIDF16_Li32ELi128ELi4ELi1EEvPvS0_PfPilllldi
    .private_segment_fixed_size: 0
    .sgpr_count:     54
    .sgpr_spill_count: 0
    .symbol:         _Z21moe_fused_gate_kernelIDF16_Li32ELi128ELi4ELi1EEvPvS0_PfPilllldi.kd
    .uniform_work_group_size: 1
    .uses_dynamic_stack: false
    .vgpr_count:     81
    .vgpr_spill_count: 0
    .wavefront_size: 32
    .workgroup_processor_mode: 1
  - .args:
      - .address_space:  global
        .offset:         0
        .size:           8
        .value_kind:     global_buffer
      - .address_space:  global
        .offset:         8
        .size:           8
        .value_kind:     global_buffer
      - .address_space:  global
        .offset:         16
        .size:           8
        .value_kind:     global_buffer
      - .address_space:  global
        .offset:         24
        .size:           8
        .value_kind:     global_buffer
      - .offset:         32
        .size:           8
        .value_kind:     by_value
      - .offset:         40
        .size:           8
        .value_kind:     by_value
      - .offset:         48
        .size:           8
        .value_kind:     by_value
      - .offset:         56
        .size:           8
        .value_kind:     by_value
      - .offset:         64
        .size:           8
        .value_kind:     by_value
      - .offset:         72
        .size:           4
        .value_kind:     by_value
    .group_segment_fixed_size: 0
    .kernarg_segment_align: 8
    .kernarg_segment_size: 76
    .language:       OpenCL C
    .language_version:
      - 2
      - 0
    .max_flat_workgroup_size: 1024
    .name:           _Z21moe_fused_gate_kernelIfLi32ELi128ELi4ELi1EEvPvS0_PfPilllldi
    .private_segment_fixed_size: 0
    .sgpr_count:     54
    .sgpr_spill_count: 0
    .symbol:         _Z21moe_fused_gate_kernelIfLi32ELi128ELi4ELi1EEvPvS0_PfPilllldi.kd
    .uniform_work_group_size: 1
    .uses_dynamic_stack: false
    .vgpr_count:     81
    .vgpr_spill_count: 0
    .wavefront_size: 32
    .workgroup_processor_mode: 1
  - .args:
      - .address_space:  global
        .offset:         0
        .size:           8
        .value_kind:     global_buffer
      - .address_space:  global
        .offset:         8
        .size:           8
        .value_kind:     global_buffer
      - .address_space:  global
        .offset:         16
        .size:           8
        .value_kind:     global_buffer
      - .address_space:  global
        .offset:         24
        .size:           8
        .value_kind:     global_buffer
      - .offset:         32
        .size:           8
        .value_kind:     by_value
      - .offset:         40
        .size:           8
        .value_kind:     by_value
      - .offset:         48
        .size:           8
        .value_kind:     by_value
      - .offset:         56
        .size:           8
        .value_kind:     by_value
      - .offset:         64
        .size:           8
        .value_kind:     by_value
      - .offset:         72
        .size:           4
        .value_kind:     by_value
    .group_segment_fixed_size: 0
    .kernarg_segment_align: 8
    .kernarg_segment_size: 76
    .language:       OpenCL C
    .language_version:
      - 2
      - 0
    .max_flat_workgroup_size: 1024
    .name:           _Z21moe_fused_gate_kernelItLi16ELi128ELi8ELi1EEvPvS0_PfPilllldi
    .private_segment_fixed_size: 0
    .sgpr_count:     36
    .sgpr_spill_count: 0
    .symbol:         _Z21moe_fused_gate_kernelItLi16ELi128ELi8ELi1EEvPvS0_PfPilllldi.kd
    .uniform_work_group_size: 1
    .uses_dynamic_stack: false
    .vgpr_count:     49
    .vgpr_spill_count: 0
    .wavefront_size: 32
    .workgroup_processor_mode: 1
  - .args:
      - .address_space:  global
        .offset:         0
        .size:           8
        .value_kind:     global_buffer
      - .address_space:  global
        .offset:         8
        .size:           8
        .value_kind:     global_buffer
      - .address_space:  global
        .offset:         16
        .size:           8
        .value_kind:     global_buffer
      - .address_space:  global
        .offset:         24
        .size:           8
        .value_kind:     global_buffer
      - .offset:         32
        .size:           8
        .value_kind:     by_value
      - .offset:         40
        .size:           8
        .value_kind:     by_value
      - .offset:         48
        .size:           8
        .value_kind:     by_value
      - .offset:         56
        .size:           8
        .value_kind:     by_value
      - .offset:         64
        .size:           8
        .value_kind:     by_value
      - .offset:         72
        .size:           4
        .value_kind:     by_value
    .group_segment_fixed_size: 0
    .kernarg_segment_align: 8
    .kernarg_segment_size: 76
    .language:       OpenCL C
    .language_version:
      - 2
      - 0
    .max_flat_workgroup_size: 1024
    .name:           _Z21moe_fused_gate_kernelIDF16_Li16ELi128ELi8ELi1EEvPvS0_PfPilllldi
    .private_segment_fixed_size: 0
    .sgpr_count:     36
    .sgpr_spill_count: 0
    .symbol:         _Z21moe_fused_gate_kernelIDF16_Li16ELi128ELi8ELi1EEvPvS0_PfPilllldi.kd
    .uniform_work_group_size: 1
    .uses_dynamic_stack: false
    .vgpr_count:     49
    .vgpr_spill_count: 0
    .wavefront_size: 32
    .workgroup_processor_mode: 1
  - .args:
      - .address_space:  global
        .offset:         0
        .size:           8
        .value_kind:     global_buffer
      - .address_space:  global
        .offset:         8
        .size:           8
        .value_kind:     global_buffer
      - .address_space:  global
        .offset:         16
        .size:           8
        .value_kind:     global_buffer
      - .address_space:  global
        .offset:         24
        .size:           8
        .value_kind:     global_buffer
      - .offset:         32
        .size:           8
        .value_kind:     by_value
      - .offset:         40
        .size:           8
        .value_kind:     by_value
      - .offset:         48
        .size:           8
        .value_kind:     by_value
      - .offset:         56
        .size:           8
        .value_kind:     by_value
      - .offset:         64
        .size:           8
        .value_kind:     by_value
      - .offset:         72
        .size:           4
        .value_kind:     by_value
    .group_segment_fixed_size: 0
    .kernarg_segment_align: 8
    .kernarg_segment_size: 76
    .language:       OpenCL C
    .language_version:
      - 2
      - 0
    .max_flat_workgroup_size: 1024
    .name:           _Z21moe_fused_gate_kernelIfLi16ELi128ELi8ELi1EEvPvS0_PfPilllldi
    .private_segment_fixed_size: 0
    .sgpr_count:     36
    .sgpr_spill_count: 0
    .symbol:         _Z21moe_fused_gate_kernelIfLi16ELi128ELi8ELi1EEvPvS0_PfPilllldi.kd
    .uniform_work_group_size: 1
    .uses_dynamic_stack: false
    .vgpr_count:     49
    .vgpr_spill_count: 0
    .wavefront_size: 32
    .workgroup_processor_mode: 1
  - .args:
      - .address_space:  global
        .offset:         0
        .size:           8
        .value_kind:     global_buffer
      - .address_space:  global
        .offset:         8
        .size:           8
        .value_kind:     global_buffer
      - .address_space:  global
        .offset:         16
        .size:           8
        .value_kind:     global_buffer
      - .address_space:  global
        .offset:         24
        .size:           8
        .value_kind:     global_buffer
      - .offset:         32
        .size:           8
        .value_kind:     by_value
      - .offset:         40
        .size:           8
        .value_kind:     by_value
      - .offset:         48
        .size:           8
        .value_kind:     by_value
      - .offset:         56
        .size:           8
        .value_kind:     by_value
      - .offset:         64
        .size:           8
        .value_kind:     by_value
      - .offset:         72
        .size:           4
        .value_kind:     by_value
    .group_segment_fixed_size: 0
    .kernarg_segment_align: 8
    .kernarg_segment_size: 76
    .language:       OpenCL C
    .language_version:
      - 2
      - 0
    .max_flat_workgroup_size: 1024
    .name:           _Z21moe_fused_gate_kernelItLi12ELi96ELi8ELi1EEvPvS0_PfPilllldi
    .private_segment_fixed_size: 0
    .sgpr_count:     34
    .sgpr_spill_count: 0
    .symbol:         _Z21moe_fused_gate_kernelItLi12ELi96ELi8ELi1EEvPvS0_PfPilllldi.kd
    .uniform_work_group_size: 1
    .uses_dynamic_stack: false
    .vgpr_count:     48
    .vgpr_spill_count: 0
    .wavefront_size: 32
    .workgroup_processor_mode: 1
  - .args:
      - .address_space:  global
        .offset:         0
        .size:           8
        .value_kind:     global_buffer
      - .address_space:  global
        .offset:         8
        .size:           8
        .value_kind:     global_buffer
      - .address_space:  global
        .offset:         16
        .size:           8
        .value_kind:     global_buffer
      - .address_space:  global
        .offset:         24
        .size:           8
        .value_kind:     global_buffer
      - .offset:         32
        .size:           8
        .value_kind:     by_value
      - .offset:         40
        .size:           8
        .value_kind:     by_value
      - .offset:         48
        .size:           8
        .value_kind:     by_value
      - .offset:         56
        .size:           8
        .value_kind:     by_value
      - .offset:         64
        .size:           8
        .value_kind:     by_value
      - .offset:         72
        .size:           4
        .value_kind:     by_value
    .group_segment_fixed_size: 0
    .kernarg_segment_align: 8
    .kernarg_segment_size: 76
    .language:       OpenCL C
    .language_version:
      - 2
      - 0
    .max_flat_workgroup_size: 1024
    .name:           _Z21moe_fused_gate_kernelIDF16_Li12ELi96ELi8ELi1EEvPvS0_PfPilllldi
    .private_segment_fixed_size: 0
    .sgpr_count:     34
    .sgpr_spill_count: 0
    .symbol:         _Z21moe_fused_gate_kernelIDF16_Li12ELi96ELi8ELi1EEvPvS0_PfPilllldi.kd
    .uniform_work_group_size: 1
    .uses_dynamic_stack: false
    .vgpr_count:     48
    .vgpr_spill_count: 0
    .wavefront_size: 32
    .workgroup_processor_mode: 1
  - .args:
      - .address_space:  global
        .offset:         0
        .size:           8
        .value_kind:     global_buffer
      - .address_space:  global
        .offset:         8
        .size:           8
        .value_kind:     global_buffer
      - .address_space:  global
        .offset:         16
        .size:           8
        .value_kind:     global_buffer
      - .address_space:  global
        .offset:         24
        .size:           8
        .value_kind:     global_buffer
      - .offset:         32
        .size:           8
        .value_kind:     by_value
      - .offset:         40
        .size:           8
        .value_kind:     by_value
      - .offset:         48
        .size:           8
        .value_kind:     by_value
      - .offset:         56
        .size:           8
        .value_kind:     by_value
      - .offset:         64
        .size:           8
        .value_kind:     by_value
      - .offset:         72
        .size:           4
        .value_kind:     by_value
    .group_segment_fixed_size: 0
    .kernarg_segment_align: 8
    .kernarg_segment_size: 76
    .language:       OpenCL C
    .language_version:
      - 2
      - 0
    .max_flat_workgroup_size: 1024
    .name:           _Z21moe_fused_gate_kernelIfLi12ELi96ELi8ELi1EEvPvS0_PfPilllldi
    .private_segment_fixed_size: 0
    .sgpr_count:     34
    .sgpr_spill_count: 0
    .symbol:         _Z21moe_fused_gate_kernelIfLi12ELi96ELi8ELi1EEvPvS0_PfPilllldi.kd
    .uniform_work_group_size: 1
    .uses_dynamic_stack: false
    .vgpr_count:     48
    .vgpr_spill_count: 0
    .wavefront_size: 32
    .workgroup_processor_mode: 1
  - .args:
      - .address_space:  global
        .offset:         0
        .size:           8
        .value_kind:     global_buffer
      - .address_space:  global
        .offset:         8
        .size:           8
        .value_kind:     global_buffer
      - .address_space:  global
        .offset:         16
        .size:           8
        .value_kind:     global_buffer
      - .address_space:  global
        .offset:         24
        .size:           8
        .value_kind:     global_buffer
      - .offset:         32
        .size:           8
        .value_kind:     by_value
      - .offset:         40
        .size:           8
        .value_kind:     by_value
      - .offset:         48
        .size:           8
        .value_kind:     by_value
      - .offset:         56
        .size:           8
        .value_kind:     by_value
      - .offset:         64
        .size:           8
        .value_kind:     by_value
      - .offset:         72
        .size:           8
        .value_kind:     by_value
      - .offset:         80
        .size:           8
        .value_kind:     by_value
      - .offset:         88
        .size:           4
        .value_kind:     by_value
    .group_segment_fixed_size: 0
    .kernarg_segment_align: 8
    .kernarg_segment_size: 92
    .language:       OpenCL C
    .language_version:
      - 2
      - 0
    .max_flat_workgroup_size: 1024
    .name:           _Z29moe_fused_gate_kernel_dynamicItEvPvS0_PfPilllllldi
    .private_segment_fixed_size: 272
    .sgpr_count:     39
    .sgpr_spill_count: 0
    .symbol:         _Z29moe_fused_gate_kernel_dynamicItEvPvS0_PfPilllllldi.kd
    .uniform_work_group_size: 1
    .uses_dynamic_stack: false
    .vgpr_count:     29
    .vgpr_spill_count: 0
    .wavefront_size: 32
    .workgroup_processor_mode: 1
  - .args:
      - .address_space:  global
        .offset:         0
        .size:           8
        .value_kind:     global_buffer
      - .address_space:  global
        .offset:         8
        .size:           8
        .value_kind:     global_buffer
      - .address_space:  global
        .offset:         16
        .size:           8
        .value_kind:     global_buffer
      - .address_space:  global
        .offset:         24
        .size:           8
        .value_kind:     global_buffer
      - .offset:         32
        .size:           8
        .value_kind:     by_value
      - .offset:         40
        .size:           8
        .value_kind:     by_value
      - .offset:         48
        .size:           8
        .value_kind:     by_value
      - .offset:         56
        .size:           8
        .value_kind:     by_value
      - .offset:         64
        .size:           8
        .value_kind:     by_value
      - .offset:         72
        .size:           8
        .value_kind:     by_value
      - .offset:         80
        .size:           8
        .value_kind:     by_value
      - .offset:         88
        .size:           4
        .value_kind:     by_value
    .group_segment_fixed_size: 0
    .kernarg_segment_align: 8
    .kernarg_segment_size: 92
    .language:       OpenCL C
    .language_version:
      - 2
      - 0
    .max_flat_workgroup_size: 1024
    .name:           _Z29moe_fused_gate_kernel_dynamicIDF16_EvPvS0_PfPilllllldi
    .private_segment_fixed_size: 272
    .sgpr_count:     39
    .sgpr_spill_count: 0
    .symbol:         _Z29moe_fused_gate_kernel_dynamicIDF16_EvPvS0_PfPilllllldi.kd
    .uniform_work_group_size: 1
    .uses_dynamic_stack: false
    .vgpr_count:     29
    .vgpr_spill_count: 0
    .wavefront_size: 32
    .workgroup_processor_mode: 1
  - .args:
      - .address_space:  global
        .offset:         0
        .size:           8
        .value_kind:     global_buffer
      - .address_space:  global
        .offset:         8
        .size:           8
        .value_kind:     global_buffer
      - .address_space:  global
        .offset:         16
        .size:           8
        .value_kind:     global_buffer
      - .address_space:  global
        .offset:         24
        .size:           8
        .value_kind:     global_buffer
      - .offset:         32
        .size:           8
        .value_kind:     by_value
      - .offset:         40
        .size:           8
        .value_kind:     by_value
      - .offset:         48
        .size:           8
        .value_kind:     by_value
      - .offset:         56
        .size:           8
        .value_kind:     by_value
      - .offset:         64
        .size:           8
        .value_kind:     by_value
      - .offset:         72
        .size:           8
        .value_kind:     by_value
      - .offset:         80
        .size:           8
        .value_kind:     by_value
      - .offset:         88
        .size:           4
        .value_kind:     by_value
    .group_segment_fixed_size: 0
    .kernarg_segment_align: 8
    .kernarg_segment_size: 92
    .language:       OpenCL C
    .language_version:
      - 2
      - 0
    .max_flat_workgroup_size: 1024
    .name:           _Z29moe_fused_gate_kernel_dynamicIfEvPvS0_PfPilllllldi
    .private_segment_fixed_size: 272
    .sgpr_count:     39
    .sgpr_spill_count: 0
    .symbol:         _Z29moe_fused_gate_kernel_dynamicIfEvPvS0_PfPilllllldi.kd
    .uniform_work_group_size: 1
    .uses_dynamic_stack: false
    .vgpr_count:     29
    .vgpr_spill_count: 0
    .wavefront_size: 32
    .workgroup_processor_mode: 1
amdhsa.target:   amdgcn-amd-amdhsa--gfx1100
amdhsa.version:
  - 1
  - 2
...

	.end_amdgpu_metadata
